;; amdgpu-corpus repo=ROCm/aiter kind=harvested arch=n/a opt=n/a

/root/src/amdgpu-assembly/repos/ROCm__aiter/hsa/gfx950/f4gemm/f4gemm_bf16_per1x32Fp4_BpreShuffle_64x512.co:	file format elf64-amdgpu

Disassembly of section .text:

0000000000002c00 <_ZN5aiter41f4gemm_bf16_per1x32Fp4_BpreShuffle_64x512E>:
	s_and_b32 s1, s1, 0xffff                                   // 000000002C00: 8601FF01 0000FFFF
	s_load_dwordx2 s[4:5], s[0:1], 0x0                         // 000000002C08: C0060100 00000000
	s_load_dwordx2 s[8:9], s[0:1], 0x10                        // 000000002C10: C0060200 00000010
	s_load_dwordx2 s[12:13], s[0:1], 0x20                      // 000000002C18: C0060300 00000020
	s_load_dwordx2 s[16:17], s[0:1], 0x30                      // 000000002C20: C0060400 00000030
	s_load_dword s41, s[0:1], 0x40                             // 000000002C28: C0020A40 00000040
	s_load_dword s42, s[0:1], 0x50                             // 000000002C30: C0020A80 00000050
	s_load_dword s36, s[0:1], 0x80                             // 000000002C38: C0020900 00000080
	s_load_dword s37, s[0:1], 0xa0                             // 000000002C40: C0020940 000000A0
	s_load_dword s38, s[0:1], 0xc0                             // 000000002C48: C0020980 000000C0
	s_load_dword s43, s[0:1], 0xe0                             // 000000002C50: C0020AC0 000000E0
	s_load_dword s44, s[0:1], 0xf0                             // 000000002C58: C0020B00 000000F0
	s_load_dword s45, s[0:1], 0x100                            // 000000002C60: C0020B40 00000100
	s_load_dwordx2 s[20:21], s[0:1], 0x110                     // 000000002C68: C0060500 00000110
	s_load_dwordx2 s[24:25], s[0:1], 0x120                     // 000000002C70: C0060600 00000120
	s_load_dword s39, s[0:1], 0x130                            // 000000002C78: C00209C0 00000130
	s_load_dword s40, s[0:1], 0x150                            // 000000002C80: C0020A00 00000150
	v_lshrrev_b32_e32 v1, 10, v0                               // 000000002C88: 2002008A
	v_lshrrev_b32_e32 v2, 10, v1                               // 000000002C8C: 2004028A
	v_and_b32_e32 v2, 0x3ff, v2                                // 000000002C90: 260404FF 000003FF
	v_and_b32_e32 v1, 0x3ff, v1                                // 000000002C98: 260202FF 000003FF
	v_and_b32_e32 v0, 0x3ff, v0                                // 000000002CA0: 260000FF 000003FF
	v_lshrrev_b32_e32 v3, 6, v0                                // 000000002CA8: 20060086
	v_and_b32_e32 v0, 63, v0                                   // 000000002CAC: 260000BF
	s_mov_b32 s47, s2                                          // 000000002CB0: BEAF0002
	s_mov_b32 s48, s3                                          // 000000002CB4: BEB00003
	v_readfirstlane_b32 s46, v3                                // 000000002CB8: 7E5C0503
	s_waitcnt lgkmcnt(0)                                       // 000000002CBC: BF8CC07F
	s_add_u32 s51, s44, 0x1ff                                  // 000000002CC0: 8033FF2C 000001FF
	s_lshr_b32 s50, s51, 9                                     // 000000002CC8: 8F328933
	s_mul_i32 s49, s50, s48                                    // 000000002CCC: 92313032
	s_add_i32 s49, s49, s47                                    // 000000002CD0: 81312F31
	s_add_u32 s51, s43, 63                                     // 000000002CD4: 8033BF2B
	s_lshr_b32 s62, s51, 6                                     // 000000002CD8: 8F3E8633
	s_lshl_b32 s62, s62, 5                                     // 000000002CDC: 8E3E853E
	s_mov_b32 s47, 0                                           // 000000002CE0: BEAF0080

0000000000002ce4 <label_0039>:
	s_cmp_lt_i32 s49, s62                                      // 000000002CE4: BF043E31
	s_cbranch_scc1 label_003E                                  // 000000002CE8: BF850003
	s_sub_i32 s49, s49, s62                                    // 000000002CEC: 81B13E31
	s_add_i32 s47, s47, 32                                     // 000000002CF0: 812FA02F
	s_branch label_0039                                        // 000000002CF4: BF82FFFB

0000000000002cf8 <label_003E>:
	s_sub_i32 s50, s50, s47                                    // 000000002CF8: 81B22F32
	s_cmp_lt_i32 s50, 32                                       // 000000002CFC: BF04A032
	s_cbranch_scc1 label_0044                                  // 000000002D00: BF850003
	s_lshr_b32 s48, s49, 5                                     // 000000002D04: 8F308531
	s_and_b32 s62, s49, 31                                     // 000000002D08: 863E9F31
	s_branch label_0064                                        // 000000002D0C: BF820020

0000000000002d10 <label_0044>:
	v_cvt_f32_u32_e32 v4, s50                                  // 000000002D10: 7E080C32
	s_sub_i32 s48, 0, s50                                      // 000000002D14: 81B03280
	v_rcp_iflag_f32_e32 v4, v4                                 // 000000002D18: 7E084704
	s_nop 0                                                    // 000000002D1C: BF800000
	v_mul_f32_e32 v4, 0x4f7ffffe, v4                           // 000000002D20: 0A0808FF 4F7FFFFE
	v_cvt_u32_f32_e32 v4, v4                                   // 000000002D28: 7E080F04
	v_mul_lo_u32 v5, s48, v4                                   // 000000002D2C: D2850005 00020830
	v_mul_hi_u32 v5, v4, v5                                    // 000000002D34: D2860005 00020B04
	v_add_u32_e32 v4, v4, v5                                   // 000000002D3C: 68080B04
	v_mul_hi_u32 v4, s49, v4                                   // 000000002D40: D2860004 00020831
	v_mul_lo_u32 v5, v4, s50                                   // 000000002D48: D2850005 00006504
	v_sub_u32_e32 v7, s49, v5                                  // 000000002D50: 6A0E0A31
	v_add_u32_e32 v6, 1, v4                                    // 000000002D54: 680C0881
	v_cmp_le_u32_e32 vcc, s50, v7                              // 000000002D58: 7D960E32
	v_subrev_u32_e32 v5, s50, v7                               // 000000002D5C: 6C0A0E32
	s_nop 0                                                    // 000000002D60: BF800000
	v_cndmask_b32_e32 v4, v4, v6, vcc                          // 000000002D64: 00080D04
	v_cndmask_b32_e32 v7, v7, v5, vcc                          // 000000002D68: 000E0B07
	v_add_u32_e32 v5, 1, v4                                    // 000000002D6C: 680A0881
	v_cmp_le_u32_e32 vcc, s50, v7                              // 000000002D70: 7D960E32
	s_nop 1                                                    // 000000002D74: BF800001
	v_cndmask_b32_e32 v7, v4, v5, vcc                          // 000000002D78: 000E0B04
	s_nop 3                                                    // 000000002D7C: BF800003
	v_readfirstlane_b32 s48, v7                                // 000000002D80: 7E600507
	s_nop 3                                                    // 000000002D84: BF800003
	s_mul_i32 s62, s50, s48                                    // 000000002D88: 923E3032
	s_sub_i32 s62, s49, s62                                    // 000000002D8C: 81BE3E31

0000000000002d90 <label_0064>:
	s_add_i32 s47, s62, s47                                    // 000000002D90: 812F2F3E
	s_lshr_b32 s37, s37, 1                                     // 000000002D94: 8F258125
	s_mul_i32 s62, s48, 64                                     // 000000002D98: 923EC030
	s_mul_hi_u32 s63, s37, s62                                 // 000000002D9C: 963F3E25
	s_add_u32 s13, s13, s63                                    // 000000002DA0: 800D3F0D
	s_mul_i32 s63, s37, s62                                    // 000000002DA4: 923F3E25
	s_add_u32 s12, s12, s63                                    // 000000002DA8: 800C3F0C
	s_addc_u32 s13, s13, 0                                     // 000000002DAC: 820D800D
	s_sub_i32 s63, s43, s62                                    // 000000002DB0: 81BF3E2B
	s_cmp_lt_u32 s63, 64                                       // 000000002DB4: BF0AC03F
	s_cselect_b32 s62, s63, 64                                 // 000000002DB8: 853EC03F
	s_mul_i32 s14, s37, s62                                    // 000000002DBC: 920E3E25
	s_mov_b32 s15, 0x20000                                     // 000000002DC0: BE8F00FF 00020000
	v_lshrrev_b32_e32 v4, 3, v0                                // 000000002DC8: 20080083
	v_lshrrev_b32_e32 v5, 2, v4                                // 000000002DCC: 200A0882
	v_lshlrev_b32_e32 v5, 4, v5                                // 000000002DD0: 240A0A84
	v_and_b32_e32 v4, 3, v4                                    // 000000002DD4: 26080883
	v_lshrrev_b32_e32 v6, 1, v4                                // 000000002DD8: 200C0881
	v_lshlrev_b32_e32 v6, 2, v6                                // 000000002DDC: 240C0C82
	v_add_u32_e32 v5, v5, v6                                   // 000000002DE0: 680A0D05
	v_and_b32_e32 v4, 1, v4                                    // 000000002DE4: 26080881
	v_add_u32_e32 v5, v5, v4                                   // 000000002DE8: 680A0905
	v_mul_lo_u32 v144, s37, v5                                 // 000000002DEC: D2850090 00020A25
	v_and_b32_e32 v4, 7, v0                                    // 000000002DF4: 26080087
	v_lshlrev_b32_e32 v4, 4, v4                                // 000000002DF8: 24080884
	v_add_u32_e32 v144, v4, v144                               // 000000002DFC: 69212104
	s_lshr_b32 s62, s46, 1                                     // 000000002E00: 8F3E812E
	s_mul_i32 s62, s62, 8                                      // 000000002E04: 923E883E
	s_and_b32 s63, s46, 1                                      // 000000002E08: 863F812E
	s_mul_i32 s63, s63, 2                                      // 000000002E0C: 923F823F
	s_add_u32 s62, s62, s63                                    // 000000002E10: 803E3F3E
	s_mul_i32 s62, s37, s62                                    // 000000002E14: 923E3E25
	v_add_u32_e32 v144, s62, v144                              // 000000002E18: 6921203E
	s_mul_i32 s62, s37, 32                                     // 000000002E1C: 923EA025
	v_add_u32_e32 v145, s62, v144                              // 000000002E20: 6923203E
	s_mul_i32 s64, 0x420, s46                                  // 000000002E24: 92402EFF 00000420
	s_add_u32 s64, 0x800, s64                                  // 000000002E2C: 804040FF 00000800
	v_and_b32_e32 v4, 15, v0                                   // 000000002E34: 2608008F
	v_lshrrev_b32_e32 v5, 3, v4                                // 000000002E38: 200A0883
	v_mul_i32_i24_e32 v5, 2, v5                                // 000000002E3C: 0C0A0A82
	v_and_b32_e32 v4, 3, v0                                    // 000000002E40: 26080083
	v_lshrrev_b32_e32 v6, 1, v4                                // 000000002E44: 200C0881
	v_add_u32_e32 v4, v5, v6                                   // 000000002E48: 68080D05
	v_mul_i32_i24_e32 v146, 0x420, v4                          // 000000002E4C: 0D2408FF 00000420
	v_and_b32_e32 v4, 7, v0                                    // 000000002E54: 26080087
	v_lshrrev_b32_e32 v5, 2, v4                                // 000000002E58: 200A0882
	v_mul_i32_i24_e32 v5, 0x100, v5                            // 000000002E5C: 0C0A0AFF 00000100
	v_add_u32_e32 v146, v5, v146                               // 000000002E64: 69252505
	v_and_b32_e32 v4, 1, v0                                    // 000000002E68: 26080081
	v_mul_i32_i24_e32 v6, 0x80, v4                             // 000000002E6C: 0C0C08FF 00000080
	v_add_u32_e32 v146, v6, v146                               // 000000002E74: 69252506
	v_lshrrev_b32_e32 v4, 4, v0                                // 000000002E78: 20080084
	v_mul_i32_i24_e32 v4, 16, v4                               // 000000002E7C: 0C080890
	v_add_u32_e32 v146, v4, v146                               // 000000002E80: 69252504
	v_add_u32_e32 v146, 0x800, v146                            // 000000002E84: 692524FF 00000800
	v_add_u32_e32 v147, 0x2100, v146                           // 000000002E8C: 692724FF 00002100
	s_mul_i32 s62, s48, 64                                     // 000000002E94: 923EC030
	s_mul_hi_u32 s63, s39, s62                                 // 000000002E98: 963F3E27
	s_add_u32 s21, s21, s63                                    // 000000002E9C: 80153F15
	s_mul_i32 s63, s39, s62                                    // 000000002EA0: 923F3E27
	s_add_u32 s20, s20, s63                                    // 000000002EA4: 80143F14
	s_addc_u32 s21, s21, 0                                     // 000000002EA8: 82158015
	s_add_u32 s63, s43, 31                                     // 000000002EAC: 803F9F2B
	s_lshr_b32 s63, s63, 5                                     // 000000002EB0: 8F3F853F
	s_lshl_b32 s63, s63, 5                                     // 000000002EB4: 8E3F853F
	s_sub_i32 s63, s63, s62                                    // 000000002EB8: 81BF3E3F
	s_cmp_lt_u32 s63, 64                                       // 000000002EBC: BF0AC03F
	s_cselect_b32 s62, s63, 64                                 // 000000002EC0: 853EC03F
	s_mul_i32 s22, s39, s62                                    // 000000002EC4: 92163E27
	s_mov_b32 s23, 0x20000                                     // 000000002EC8: BE9700FF 00020000
	v_lshlrev_b32_e32 v148, 2, v0                              // 000000002ED0: 25280082
	s_mul_i32 s63, s46, 32                                     // 000000002ED4: 923FA02E
	s_mul_i32 s63, s63, s39                                    // 000000002ED8: 923F273F
	v_add_u32_e32 v148, s63, v148                              // 000000002EDC: 6929283F
	s_mul_i32 s65, s46, 0x100                                  // 000000002EE0: 9241FF2E 00000100
	s_add_i32 s65, s65, 0                                      // 000000002EE8: 81418041
	v_lshlrev_b32_e32 v149, 2, v0                              // 000000002EEC: 252A0082
	v_add_u32_e32 v149, 0, v149                                // 000000002EF0: 692B2A80
	s_lshr_b32 s38, s38, 1                                     // 000000002EF4: 8F268126
	s_mul_i32 s62, s47, 0x200                                  // 000000002EF8: 923EFF2F 00000200
	s_mul_hi_u32 s63, s38, s62                                 // 000000002F00: 963F3E26
	s_add_u32 s17, s17, s63                                    // 000000002F04: 80113F11
	s_mul_i32 s63, s38, s62                                    // 000000002F08: 923F3E26
	s_add_u32 s16, s16, s63                                    // 000000002F0C: 80103F10
	s_addc_u32 s17, s17, 0                                     // 000000002F10: 82118011
	s_sub_i32 s63, s44, s62                                    // 000000002F14: 81BF3E2C
	s_cmp_lt_u32 s63, 0x200                                    // 000000002F18: BF0AFF3F 00000200
	s_cselect_b32 s62, s63, 0x200                              // 000000002F20: 853EFF3F 00000200
	s_mul_i32 s18, s38, s62                                    // 000000002F28: 92123E26
	s_mov_b32 s19, 0x20000                                     // 000000002F2C: BE9300FF 00020000
	v_lshlrev_b32_e32 v150, 4, v0                              // 000000002F34: 252C0084
	s_mul_i32 s63, s46, 0x80                                   // 000000002F38: 923FFF2E 00000080
	s_mul_i32 s62, s63, s38                                    // 000000002F40: 923E263F
	v_add_u32_e32 v150, s62, v150                              // 000000002F44: 692D2C3E
	s_mul_i32 s62, 16, s38                                     // 000000002F48: 923E2690
	v_add_u32_e32 v151, s62, v150                              // 000000002F4C: 692F2C3E
	v_add_u32_e32 v152, s62, v151                              // 000000002F50: 69312E3E
	v_add_u32_e32 v153, s62, v152                              // 000000002F54: 6933303E
	v_add_u32_e32 v154, s62, v153                              // 000000002F58: 6935323E
	v_add_u32_e32 v155, s62, v154                              // 000000002F5C: 6937343E
	v_add_u32_e32 v156, s62, v155                              // 000000002F60: 6939363E
	v_add_u32_e32 v157, s62, v156                              // 000000002F64: 693B383E
	s_mul_i32 s62, s47, 0x200                                  // 000000002F68: 923EFF2F 00000200
	s_mul_hi_u32 s63, s40, s62                                 // 000000002F70: 963F3E28
	s_add_u32 s25, s25, s63                                    // 000000002F74: 80193F19
	s_mul_i32 s63, s40, s62                                    // 000000002F78: 923F3E28
	s_add_u32 s24, s24, s63                                    // 000000002F7C: 80183F18
	s_addc_u32 s25, s25, 0                                     // 000000002F80: 82198019
	s_sub_i32 s63, s44, s62                                    // 000000002F84: 81BF3E2C
	s_cmp_lt_u32 s63, 0x200                                    // 000000002F88: BF0AFF3F 00000200
	s_cselect_b32 s62, s63, 0x200                              // 000000002F90: 853EFF3F 00000200
	s_mul_i32 s26, s40, s62                                    // 000000002F98: 921A3E28
	s_mov_b32 s27, 0x20000                                     // 000000002F9C: BE9B00FF 00020000
	v_lshlrev_b32_e32 v158, 2, v0                              // 000000002FA4: 253C0082
	s_mul_i32 s63, s46, 0x80                                   // 000000002FA8: 923FFF2E 00000080
	s_mul_i32 s63, s63, s40                                    // 000000002FB0: 923F283F
	v_add_u32_e32 v158, s63, v158                              // 000000002FB4: 693D3C3F
	s_mul_i32 s62, 32, s40                                     // 000000002FB8: 923E28A0
	v_add_u32_e32 v159, s62, v158                              // 000000002FBC: 693F3C3E
	v_add_u32_e32 v160, s62, v159                              // 000000002FC0: 69413E3E
	v_add_u32_e32 v161, s62, v160                              // 000000002FC4: 6943403E
	s_mov_b32 s66, 0x80                                        // 000000002FC8: BEC200FF 00000080
	s_mov_b32 s67, 0x800                                       // 000000002FD0: BEC300FF 00000800
	s_mov_b32 s68, 0x100                                       // 000000002FD8: BEC400FF 00000100
	s_mov_b32 s69, 0x100                                       // 000000002FE0: BEC500FF 00000100
	s_mov_b32 s60, 0                                           // 000000002FE8: BEBC0080
	s_mov_b32 s61, s45                                         // 000000002FEC: BEBD002D
	s_add_u32 m0, 0, s65                                       // 000000002FF0: 807C4180
	buffer_load_dword v148, s[20:23], 0 offen lds              // 000000002FF4: E0511000 80050094
	v_accvgpr_write_b32 a0, 0                                  // 000000002FFC: D3D94000 18000080
	v_accvgpr_write_b32 a1, 0                                  // 000000003004: D3D94001 18000080
	v_accvgpr_write_b32 a2, 0                                  // 00000000300C: D3D94002 18000080
	v_accvgpr_write_b32 a3, 0                                  // 000000003014: D3D94003 18000080
	v_accvgpr_write_b32 a4, 0                                  // 00000000301C: D3D94004 18000080
	v_accvgpr_write_b32 a5, 0                                  // 000000003024: D3D94005 18000080
	s_add_u32 m0, 0, s64                                       // 00000000302C: 807C4080
	buffer_load_dwordx4 v144, s[12:15], 0 offen lds            // 000000003030: E05D1000 80030090
	v_accvgpr_write_b32 a6, 0                                  // 000000003038: D3D94006 18000080
	v_accvgpr_write_b32 a7, 0                                  // 000000003040: D3D94007 18000080
	v_accvgpr_write_b32 a8, 0                                  // 000000003048: D3D94008 18000080
	v_accvgpr_write_b32 a9, 0                                  // 000000003050: D3D94009 18000080
	v_accvgpr_write_b32 a10, 0                                 // 000000003058: D3D9400A 18000080
	v_accvgpr_write_b32 a11, 0                                 // 000000003060: D3D9400B 18000080
	s_add_u32 m0, 0x1080, s64                                  // 000000003068: 807C40FF 00001080
	buffer_load_dwordx4 v145, s[12:15], 0 offen lds            // 000000003070: E05D1000 80030091
	v_accvgpr_write_b32 a12, 0                                 // 000000003078: D3D9400C 18000080
	v_accvgpr_write_b32 a13, 0                                 // 000000003080: D3D9400D 18000080
	v_accvgpr_write_b32 a14, 0                                 // 000000003088: D3D9400E 18000080
	v_accvgpr_write_b32 a15, 0                                 // 000000003090: D3D9400F 18000080
	v_accvgpr_write_b32 a16, 0                                 // 000000003098: D3D94010 18000080
	v_accvgpr_write_b32 a17, 0                                 // 0000000030A0: D3D94011 18000080
	buffer_load_dwordx4 v[72:75], v150, s[16:19], 0 offen      // 0000000030A8: E05C1000 80044896
	v_accvgpr_write_b32 a18, 0                                 // 0000000030B0: D3D94012 18000080
	v_accvgpr_write_b32 a19, 0                                 // 0000000030B8: D3D94013 18000080
	v_accvgpr_write_b32 a20, 0                                 // 0000000030C0: D3D94014 18000080
	v_accvgpr_write_b32 a21, 0                                 // 0000000030C8: D3D94015 18000080
	v_accvgpr_write_b32 a22, 0                                 // 0000000030D0: D3D94016 18000080
	v_accvgpr_write_b32 a23, 0                                 // 0000000030D8: D3D94017 18000080
	buffer_load_dwordx4 v[76:79], v151, s[16:19], 0 offen      // 0000000030E0: E05C1000 80044C97
	v_accvgpr_write_b32 a24, 0                                 // 0000000030E8: D3D94018 18000080
	v_accvgpr_write_b32 a25, 0                                 // 0000000030F0: D3D94019 18000080
	v_accvgpr_write_b32 a26, 0                                 // 0000000030F8: D3D9401A 18000080
	v_accvgpr_write_b32 a27, 0                                 // 000000003100: D3D9401B 18000080
	v_accvgpr_write_b32 a28, 0                                 // 000000003108: D3D9401C 18000080
	v_accvgpr_write_b32 a29, 0                                 // 000000003110: D3D9401D 18000080
	buffer_load_dwordx4 v[80:83], v150, s[16:19], 0 offen offset:1024// 000000003118: E05C1400 80045096
	v_accvgpr_write_b32 a30, 0                                 // 000000003120: D3D9401E 18000080
	v_accvgpr_write_b32 a31, 0                                 // 000000003128: D3D9401F 18000080
	v_accvgpr_write_b32 a32, 0                                 // 000000003130: D3D94020 18000080
	v_accvgpr_write_b32 a33, 0                                 // 000000003138: D3D94021 18000080
	v_accvgpr_write_b32 a34, 0                                 // 000000003140: D3D94022 18000080
	v_accvgpr_write_b32 a35, 0                                 // 000000003148: D3D94023 18000080
	buffer_load_dwordx4 v[84:87], v151, s[16:19], 0 offen offset:1024// 000000003150: E05C1400 80045497
	v_accvgpr_write_b32 a36, 0                                 // 000000003158: D3D94024 18000080
	v_accvgpr_write_b32 a37, 0                                 // 000000003160: D3D94025 18000080
	v_accvgpr_write_b32 a38, 0                                 // 000000003168: D3D94026 18000080
	v_accvgpr_write_b32 a39, 0                                 // 000000003170: D3D94027 18000080
	v_accvgpr_write_b32 a40, 0                                 // 000000003178: D3D94028 18000080
	v_accvgpr_write_b32 a41, 0                                 // 000000003180: D3D94029 18000080
	buffer_load_dword v140, v158, s[24:27], 0 offen            // 000000003188: E0501000 80068C9E
	v_accvgpr_write_b32 a42, 0                                 // 000000003190: D3D9402A 18000080
	v_accvgpr_write_b32 a43, 0                                 // 000000003198: D3D9402B 18000080
	v_accvgpr_write_b32 a44, 0                                 // 0000000031A0: D3D9402C 18000080
	v_accvgpr_write_b32 a45, 0                                 // 0000000031A8: D3D9402D 18000080
	v_accvgpr_write_b32 a46, 0                                 // 0000000031B0: D3D9402E 18000080
	v_accvgpr_write_b32 a47, 0                                 // 0000000031B8: D3D9402F 18000080
	s_add_u32 s62, 0x100, s60                                  // 0000000031C0: 803E3CFF 00000100
	s_cmp_lt_u32 s62, s61                                      // 0000000031C8: BF0A3D3E
	s_cselect_b32 s66, s66, 0                                  // 0000000031CC: 85428042
	s_cselect_b32 s68, s68, 0                                  // 0000000031D0: 85448044
	s_add_u32 s12, s12, s66                                    // 0000000031D4: 800C420C
	s_addc_u32 s13, 0, s13                                     // 0000000031D8: 820D0D80
	s_sub_u32 s14, s14, s66                                    // 0000000031DC: 808E420E
	s_add_u32 s20, s20, s68                                    // 0000000031E0: 80144414
	s_addc_u32 s21, 0, s21                                     // 0000000031E4: 82151580
	s_sub_u32 s22, s22, s68                                    // 0000000031E8: 80964416
	buffer_load_dwordx4 v[88:91], v152, s[16:19], 0 offen      // 0000000031EC: E05C1000 80045898
	v_accvgpr_write_b32 a48, 0                                 // 0000000031F4: D3D94030 18000080
	v_accvgpr_write_b32 a49, 0                                 // 0000000031FC: D3D94031 18000080
	v_accvgpr_write_b32 a50, 0                                 // 000000003204: D3D94032 18000080
	v_accvgpr_write_b32 a51, 0                                 // 00000000320C: D3D94033 18000080
	v_accvgpr_write_b32 a52, 0                                 // 000000003214: D3D94034 18000080
	v_accvgpr_write_b32 a53, 0                                 // 00000000321C: D3D94035 18000080
	buffer_load_dwordx4 v[92:95], v153, s[16:19], 0 offen      // 000000003224: E05C1000 80045C99
	v_accvgpr_write_b32 a54, 0                                 // 00000000322C: D3D94036 18000080
	v_accvgpr_write_b32 a55, 0                                 // 000000003234: D3D94037 18000080
	v_accvgpr_write_b32 a56, 0                                 // 00000000323C: D3D94038 18000080
	v_accvgpr_write_b32 a57, 0                                 // 000000003244: D3D94039 18000080
	v_accvgpr_write_b32 a58, 0                                 // 00000000324C: D3D9403A 18000080
	v_accvgpr_write_b32 a59, 0                                 // 000000003254: D3D9403B 18000080
	buffer_load_dwordx4 v[96:99], v152, s[16:19], 0 offen offset:1024// 00000000325C: E05C1400 80046098
	v_accvgpr_write_b32 a60, 0                                 // 000000003264: D3D9403C 18000080
	v_accvgpr_write_b32 a61, 0                                 // 00000000326C: D3D9403D 18000080
	v_accvgpr_write_b32 a62, 0                                 // 000000003274: D3D9403E 18000080
	v_accvgpr_write_b32 a63, 0                                 // 00000000327C: D3D9403F 18000080
	v_accvgpr_write_b32 a64, 0                                 // 000000003284: D3D94040 18000080
	v_accvgpr_write_b32 a65, 0                                 // 00000000328C: D3D94041 18000080
	buffer_load_dwordx4 v[100:103], v153, s[16:19], 0 offen offset:1024// 000000003294: E05C1400 80046499
	v_accvgpr_write_b32 a66, 0                                 // 00000000329C: D3D94042 18000080
	v_accvgpr_write_b32 a67, 0                                 // 0000000032A4: D3D94043 18000080
	v_accvgpr_write_b32 a68, 0                                 // 0000000032AC: D3D94044 18000080
	v_accvgpr_write_b32 a69, 0                                 // 0000000032B4: D3D94045 18000080
	v_accvgpr_write_b32 a70, 0                                 // 0000000032BC: D3D94046 18000080
	v_accvgpr_write_b32 a71, 0                                 // 0000000032C4: D3D94047 18000080
	buffer_load_dword v141, v159, s[24:27], 0 offen            // 0000000032CC: E0501000 80068D9F
	v_accvgpr_write_b32 a72, 0                                 // 0000000032D4: D3D94048 18000080
	v_accvgpr_write_b32 a73, 0                                 // 0000000032DC: D3D94049 18000080
	v_accvgpr_write_b32 a74, 0                                 // 0000000032E4: D3D9404A 18000080
	v_accvgpr_write_b32 a75, 0                                 // 0000000032EC: D3D9404B 18000080
	v_accvgpr_write_b32 a76, 0                                 // 0000000032F4: D3D9404C 18000080
	v_accvgpr_write_b32 a77, 0                                 // 0000000032FC: D3D9404D 18000080
	buffer_load_dwordx4 v[104:107], v154, s[16:19], 0 offen    // 000000003304: E05C1000 8004689A
	v_accvgpr_write_b32 a78, 0                                 // 00000000330C: D3D9404E 18000080
	v_accvgpr_write_b32 a79, 0                                 // 000000003314: D3D9404F 18000080
	v_accvgpr_write_b32 a80, 0                                 // 00000000331C: D3D94050 18000080
	v_accvgpr_write_b32 a81, 0                                 // 000000003324: D3D94051 18000080
	v_accvgpr_write_b32 a82, 0                                 // 00000000332C: D3D94052 18000080
	v_accvgpr_write_b32 a83, 0                                 // 000000003334: D3D94053 18000080
	buffer_load_dwordx4 v[108:111], v155, s[16:19], 0 offen    // 00000000333C: E05C1000 80046C9B
	v_accvgpr_write_b32 a84, 0                                 // 000000003344: D3D94054 18000080
	v_accvgpr_write_b32 a85, 0                                 // 00000000334C: D3D94055 18000080
	v_accvgpr_write_b32 a86, 0                                 // 000000003354: D3D94056 18000080
	v_accvgpr_write_b32 a87, 0                                 // 00000000335C: D3D94057 18000080
	v_accvgpr_write_b32 a88, 0                                 // 000000003364: D3D94058 18000080
	v_accvgpr_write_b32 a89, 0                                 // 00000000336C: D3D94059 18000080
	buffer_load_dwordx4 v[112:115], v154, s[16:19], 0 offen offset:1024// 000000003374: E05C1400 8004709A
	v_accvgpr_write_b32 a90, 0                                 // 00000000337C: D3D9405A 18000080
	v_accvgpr_write_b32 a91, 0                                 // 000000003384: D3D9405B 18000080
	v_accvgpr_write_b32 a92, 0                                 // 00000000338C: D3D9405C 18000080
	v_accvgpr_write_b32 a93, 0                                 // 000000003394: D3D9405D 18000080
	v_accvgpr_write_b32 a94, 0                                 // 00000000339C: D3D9405E 18000080
	v_accvgpr_write_b32 a95, 0                                 // 0000000033A4: D3D9405F 18000080
	buffer_load_dwordx4 v[116:119], v155, s[16:19], 0 offen offset:1024// 0000000033AC: E05C1400 8004749B
	v_accvgpr_write_b32 a96, 0                                 // 0000000033B4: D3D94060 18000080
	v_accvgpr_write_b32 a97, 0                                 // 0000000033BC: D3D94061 18000080
	v_accvgpr_write_b32 a98, 0                                 // 0000000033C4: D3D94062 18000080
	v_accvgpr_write_b32 a99, 0                                 // 0000000033CC: D3D94063 18000080
	v_accvgpr_write_b32 a100, 0                                // 0000000033D4: D3D94064 18000080
	v_accvgpr_write_b32 a101, 0                                // 0000000033DC: D3D94065 18000080
	buffer_load_dword v142, v160, s[24:27], 0 offen            // 0000000033E4: E0501000 80068EA0
	v_accvgpr_write_b32 a102, 0                                // 0000000033EC: D3D94066 18000080
	v_accvgpr_write_b32 a103, 0                                // 0000000033F4: D3D94067 18000080
	v_accvgpr_write_b32 a104, 0                                // 0000000033FC: D3D94068 18000080
	v_accvgpr_write_b32 a105, 0                                // 000000003404: D3D94069 18000080
	v_accvgpr_write_b32 a106, 0                                // 00000000340C: D3D9406A 18000080
	v_accvgpr_write_b32 a107, 0                                // 000000003414: D3D9406B 18000080
	v_accvgpr_write_b32 a108, 0                                // 00000000341C: D3D9406C 18000080
	v_accvgpr_write_b32 a109, 0                                // 000000003424: D3D9406D 18000080
	v_accvgpr_write_b32 a110, 0                                // 00000000342C: D3D9406E 18000080
	v_accvgpr_write_b32 a111, 0                                // 000000003434: D3D9406F 18000080
	v_accvgpr_write_b32 a112, 0                                // 00000000343C: D3D94070 18000080
	v_accvgpr_write_b32 a113, 0                                // 000000003444: D3D94071 18000080
	v_accvgpr_write_b32 a114, 0                                // 00000000344C: D3D94072 18000080
	v_accvgpr_write_b32 a115, 0                                // 000000003454: D3D94073 18000080
	v_accvgpr_write_b32 a116, 0                                // 00000000345C: D3D94074 18000080
	v_accvgpr_write_b32 a117, 0                                // 000000003464: D3D94075 18000080
	v_accvgpr_write_b32 a118, 0                                // 00000000346C: D3D94076 18000080
	v_accvgpr_write_b32 a119, 0                                // 000000003474: D3D94077 18000080
	v_accvgpr_write_b32 a120, 0                                // 00000000347C: D3D94078 18000080
	v_accvgpr_write_b32 a121, 0                                // 000000003484: D3D94079 18000080
	v_accvgpr_write_b32 a122, 0                                // 00000000348C: D3D9407A 18000080
	v_accvgpr_write_b32 a123, 0                                // 000000003494: D3D9407B 18000080
	v_accvgpr_write_b32 a124, 0                                // 00000000349C: D3D9407C 18000080
	v_accvgpr_write_b32 a125, 0                                // 0000000034A4: D3D9407D 18000080
	v_accvgpr_write_b32 a126, 0                                // 0000000034AC: D3D9407E 18000080
	v_accvgpr_write_b32 a127, 0                                // 0000000034B4: D3D9407F 18000080
	s_waitcnt vmcnt(15)                                        // 0000000034BC: BF8C0F7F
	s_barrier                                                  // 0000000034C0: BF8A0000
	ds_read_b128 v[8:11], v146                                 // 0000000034C4: D9FE0000 08000092
	ds_read_b128 v[16:19], v146 offset:64                      // 0000000034CC: D9FE0040 10000092
	ds_read_b128 v[12:15], v146 offset:512                     // 0000000034D4: D9FE0200 0C000092
	ds_read_b128 v[20:23], v146 offset:576                     // 0000000034DC: D9FE0240 14000092
	ds_read_b32 v136, v149                                     // 0000000034E4: D86C0000 88000095
	ds_read_b128 v[24:27], v146 offset:4224                    // 0000000034EC: D9FE1080 18000092
	ds_read_b128 v[32:35], v146 offset:4288                    // 0000000034F4: D9FE10C0 20000092
	ds_read_b128 v[28:31], v146 offset:4736                    // 0000000034FC: D9FE1280 1C000092
	ds_read_b128 v[36:39], v146 offset:4800                    // 000000003504: D9FE12C0 24000092
	ds_read_b32 v137, v149 offset:256                          // 00000000350C: D86C0100 89000095
	s_nop 0                                                    // 000000003514: BF800000
	s_nop 0                                                    // 000000003518: BF800000
	s_nop 0                                                    // 00000000351C: BF800000
	s_nop 0                                                    // 000000003520: BF800000
	s_nop 0                                                    // 000000003524: BF800000
	s_lshl_b32 s36, s36, 1                                     // 000000003528: 8E248124
	s_mul_i32 s62, s48, 64                                     // 00000000352C: 923EC030
	s_mul_hi_u32 s63, s36, s62                                 // 000000003530: 963F3E24
	s_add_u32 s5, s5, s63                                      // 000000003534: 80053F05
	s_mul_i32 s63, s36, s62                                    // 000000003538: 923F3E24
	s_add_u32 s4, s4, s63                                      // 00000000353C: 80043F04
	s_addc_u32 s5, s5, 0                                       // 000000003540: 82058005
	s_mul_i32 s63, s47, 0x200                                  // 000000003544: 923FFF2F 00000200
	s_lshl_b32 s63, s63, 1                                     // 00000000354C: 8E3F813F
	s_add_u32 s4, s4, s63                                      // 000000003550: 80043F04
	s_addc_u32 s5, s5, 0                                       // 000000003554: 82058005
	s_sub_i32 s62, s43, s62                                    // 000000003558: 81BE3E2B
	s_cmp_lt_u32 s62, 64                                       // 00000000355C: BF0AC03E
	s_cselect_b32 s62, s62, 64                                 // 000000003560: 853EC03E
	s_mul_i32 s62, s36, s62                                    // 000000003564: 923E3E24
	s_sub_i32 s6, s62, s63                                     // 000000003568: 81863F3E
	s_mov_b32 s7, 0x20000                                      // 00000000356C: BE8700FF 00020000
	s_mul_i32 s62, s46, 0x80                                   // 000000003574: 923EFF2E 00000080
	s_lshl_b32 s62, s62, 1                                     // 00000000357C: 8E3E813E
	v_lshrrev_b32_e32 v4, 5, v0                                // 000000003580: 20080085
	v_mul_i32_i24_e32 v4, 16, v4                               // 000000003584: 0C080890
	v_lshrrev_b32_e32 v5, 4, v0                                // 000000003588: 200A0084
	v_and_b32_e32 v5, 1, v5                                    // 00000000358C: 260A0A81
	v_mul_i32_i24_e32 v5, 32, v5                               // 000000003590: 0C0A0AA0
	v_add_u32_e32 v4, v4, v5                                   // 000000003594: 68080B04
	v_and_b32_e32 v5, 15, v0                                   // 000000003598: 260A008F
	v_mul_lo_u32 v162, s36, v5                                 // 00000000359C: D28500A2 00020A24
	v_add_u32_e32 v162, s62, v162                              // 0000000035A4: 6945443E
	v_add_u32_e32 v162, v4, v162                               // 0000000035A8: 69454504
	s_cmp_lt_i32 s46, 2                                        // 0000000035AC: BF04822E
	s_cbranch_scc0 label_053A                                  // 0000000035B0: BF8402CD

00000000000035b4 <label_026D>:
	s_waitcnt vmcnt(10) lgkmcnt(5)                             // 0000000035B4: BF8C057A
	v_mfma_scale_f32_16x16x128_f8f6f4 a[0:3], v[72:75], v[8:11], a[0:3], v140, v136 op_sel_hi:[0,0,0] cbsz:4 blgp:4// 0000000035B8: D3AC6000 0003118C D3AD8C00 84021148
	s_add_u32 s63, 0x100, s60                                  // 0000000035C8: 803F3CFF 00000100
	s_cmp_lt_u32 s63, s61                                      // 0000000035D0: BF0A3D3F
	v_mfma_scale_f32_16x16x128_f8f6f4 a[4:7], v[72:75], v[12:15], a[4:7], v140, v136 op_sel_hi:[0,0,0] cbsz:4 blgp:4// 0000000035D4: D3AC7000 0003118C D3AD8C04 84121948
	s_cselect_b32 s67, s67, 0                                  // 0000000035E4: 85438043
	buffer_load_dwordx4 v[120:123], v156, s[16:19], 0 offen    // 0000000035E8: E05C1000 8004789C
	v_mfma_scale_f32_16x16x128_f8f6f4 a[8:11], v[76:79], v[8:11], a[8:11], v140, v136 op_sel_hi:[0,0,0] cbsz:4 blgp:4// 0000000035F0: D3AC6800 0003118C D3AD8C08 8422114C
	s_cselect_b32 s69, s69, 0                                  // 000000003600: 85458045
	v_mfma_scale_f32_16x16x128_f8f6f4 a[12:15], v[76:79], v[12:15], a[12:15], v140, v136 op_sel_hi:[0,0,0] cbsz:4 blgp:4// 000000003604: D3AC1800 0003118C D3AD8C0C 8432194C
	buffer_load_dwordx4 v[124:127], v157, s[16:19], 0 offen    // 000000003614: E05C1000 80047C9D
	v_mfma_scale_f32_16x16x128_f8f6f4 a[0:3], v[80:83], v[16:19], a[0:3], v140, v136 op_sel_hi:[0,0,0] cbsz:4 blgp:4// 00000000361C: D3AC0000 1803118C D3AD8C00 84022150
	v_mfma_scale_f32_16x16x128_f8f6f4 a[4:7], v[80:83], v[20:23], a[4:7], v140, v136 op_sel_hi:[0,0,0] cbsz:4 blgp:4// 00000000362C: D3AC7000 1803118C D3AD8C04 84122950
	buffer_load_dwordx4 v[128:131], v156, s[16:19], 0 offen offset:1024// 00000000363C: E05C1400 8004809C
	v_mfma_scale_f32_16x16x128_f8f6f4 a[8:11], v[84:87], v[16:19], a[8:11], v140, v136 op_sel_hi:[0,0,0] cbsz:4 blgp:4// 000000003644: D3AC6800 1803118C D3AD8C08 84222154
	v_mfma_scale_f32_16x16x128_f8f6f4 a[12:15], v[84:87], v[20:23], a[12:15], v140, v136 op_sel_hi:[0,0,0] cbsz:4 blgp:4// 000000003654: D3AC7800 1803118C D3AD8C0C 84322954
	buffer_load_dwordx4 v[132:135], v157, s[16:19], 0 offen offset:1024// 000000003664: E05C1400 8004849D
	s_waitcnt lgkmcnt(0)                                       // 00000000366C: BF8CC07F
	v_mfma_scale_f32_16x16x128_f8f6f4 a[64:67], v[72:75], v[24:27], a[64:67], v140, v137 op_sel_hi:[0,0,0] cbsz:4 blgp:4// 000000003670: D3AC6000 0003138C D3AD8C40 85023148
	v_mfma_scale_f32_16x16x128_f8f6f4 a[68:71], v[72:75], v[28:31], a[68:71], v140, v137 op_sel_hi:[0,0,0] cbsz:4 blgp:4// 000000003680: D3AC7000 0003138C D3AD8C44 85123948
	buffer_load_dword v143, v161, s[24:27], 0 offen            // 000000003690: E0501000 80068FA1
	v_mfma_scale_f32_16x16x128_f8f6f4 a[72:75], v[76:79], v[24:27], a[72:75], v140, v137 op_sel_hi:[0,0,0] cbsz:4 blgp:4// 000000003698: D3AC6800 0003138C D3AD8C48 8522314C
	s_add_u32 s16, s16, s67                                    // 0000000036A8: 80104310
	s_addc_u32 s17, 0, s17                                     // 0000000036AC: 82111180
	v_mfma_scale_f32_16x16x128_f8f6f4 a[76:79], v[76:79], v[28:31], a[76:79], v140, v137 op_sel_hi:[0,0,0] cbsz:4 blgp:4// 0000000036B0: D3AC7800 0003138C D3AD8C4C 8532394C
	s_sub_u32 s18, s18, s67                                    // 0000000036C0: 80924312
	s_add_u32 s24, s24, s69                                    // 0000000036C4: 80184518
	v_mfma_scale_f32_16x16x128_f8f6f4 a[64:67], v[80:83], v[32:35], a[64:67], v140, v137 op_sel_hi:[0,0,0] cbsz:4 blgp:4// 0000000036C8: D3AC6000 1803138C D3AD8C40 85024150
	s_addc_u32 s25, 0, s25                                     // 0000000036D8: 82191980
	s_sub_u32 s26, s26, s69                                    // 0000000036DC: 809A451A
	v_mfma_scale_f32_16x16x128_f8f6f4 a[68:71], v[80:83], v[36:39], a[68:71], v140, v137 op_sel_hi:[0,0,0] cbsz:4 blgp:4// 0000000036E0: D3AC7000 1803138C D3AD8C44 85124950
	s_add_u32 m0, 0x400, s65                                   // 0000000036F0: 807C41FF 00000400
	buffer_load_dword v148, s[20:23], 0 offen lds              // 0000000036F8: E0511000 80050094
	v_mfma_scale_f32_16x16x128_f8f6f4 a[72:75], v[84:87], v[32:35], a[72:75], v140, v137 op_sel_hi:[0,0,0] cbsz:4 blgp:4// 000000003700: D3AC6800 1803138C D3AD8C48 85224154
	v_mfma_scale_f32_16x16x128_f8f6f4 a[76:79], v[84:87], v[36:39], a[76:79], v140, v137 op_sel_hi:[0,0,0] cbsz:4 blgp:4// 000000003710: D3AC7800 1803138C D3AD8C4C 85324954
	s_waitcnt vmcnt(11)                                        // 000000003720: BF8C0F7B
	v_mfma_scale_f32_16x16x128_f8f6f4 a[16:19], v[88:91], v[8:11], a[16:19], v141, v136 op_sel_hi:[0,0,0] cbsz:4 blgp:4// 000000003724: D3AC6000 0003118D D3AD8C10 84421158
	v_mfma_scale_f32_16x16x128_f8f6f4 a[20:23], v[88:91], v[12:15], a[20:23], v141, v136 op_sel_hi:[0,0,0] cbsz:4 blgp:4// 000000003734: D3AC7000 0003118D D3AD8C14 84521958
	s_add_u32 m0, 0x2100, s64                                  // 000000003744: 807C40FF 00002100
	buffer_load_dwordx4 v144, s[12:15], 0 offen lds            // 00000000374C: E05D1000 80030090
	v_mfma_scale_f32_16x16x128_f8f6f4 a[24:27], v[92:95], v[8:11], a[24:27], v141, v136 op_sel_hi:[0,0,0] cbsz:4 blgp:4// 000000003754: D3AC6800 0003118D D3AD8C18 8462115C
	v_mfma_scale_f32_16x16x128_f8f6f4 a[28:31], v[92:95], v[12:15], a[28:31], v141, v136 op_sel_hi:[0,0,0] cbsz:4 blgp:4// 000000003764: D3AC7800 0003118D D3AD8C1C 8472195C
	s_add_u32 m0, 0x3180, s64                                  // 000000003774: 807C40FF 00003180
	buffer_load_dwordx4 v145, s[12:15], 0 offen lds            // 00000000377C: E05D1000 80030091
	v_mfma_scale_f32_16x16x128_f8f6f4 a[16:19], v[96:99], v[16:19], a[16:19], v141, v136 op_sel_hi:[0,0,0] cbsz:4 blgp:4// 000000003784: D3AC6000 1803118D D3AD8C10 84422160
	s_add_u32 s62, 0x200, s60                                  // 000000003794: 803E3CFF 00000200
	s_cmp_lt_u32 s62, s61                                      // 00000000379C: BF0A3D3E
	v_mfma_scale_f32_16x16x128_f8f6f4 a[20:23], v[96:99], v[20:23], a[20:23], v141, v136 op_sel_hi:[0,0,0] cbsz:4 blgp:4// 0000000037A0: D3AC7000 1803118D D3AD8C14 84522960
	s_cselect_b32 s66, s66, 0                                  // 0000000037B0: 85428042
	buffer_load_dwordx4 v[72:75], v150, s[16:19], 0 offen      // 0000000037B4: E05C1000 80044896
	v_mfma_scale_f32_16x16x128_f8f6f4 a[24:27], v[100:103], v[16:19], a[24:27], v141, v136 op_sel_hi:[0,0,0] cbsz:4 blgp:4// 0000000037BC: D3AC6800 1803118D D3AD8C18 84622164
	s_cselect_b32 s68, s68, 0                                  // 0000000037CC: 85448044
	s_add_u32 s12, s12, s66                                    // 0000000037D0: 800C420C
	v_mfma_scale_f32_16x16x128_f8f6f4 a[28:31], v[100:103], v[20:23], a[28:31], v141, v136 op_sel_hi:[0,0,0] cbsz:4 blgp:4// 0000000037D4: D3AC7800 1803118D D3AD8C1C 84722964
	s_addc_u32 s13, 0, s13                                     // 0000000037E4: 820D0D80
	buffer_load_dwordx4 v[76:79], v151, s[16:19], 0 offen      // 0000000037E8: E05C1000 80044C97
	v_mfma_scale_f32_16x16x128_f8f6f4 a[80:83], v[88:91], v[24:27], a[80:83], v141, v137 op_sel_hi:[0,0,0] cbsz:4 blgp:4// 0000000037F0: D3AC6000 0003138D D3AD8C50 85423158
	s_sub_u32 s14, s14, s66                                    // 000000003800: 808E420E
	s_add_u32 s20, s20, s68                                    // 000000003804: 80144414
	v_mfma_scale_f32_16x16x128_f8f6f4 a[84:87], v[88:91], v[28:31], a[84:87], v141, v137 op_sel_hi:[0,0,0] cbsz:4 blgp:4// 000000003808: D3AC7000 0003138D D3AD8C54 85523958
	s_addc_u32 s21, 0, s21                                     // 000000003818: 82151580
	buffer_load_dwordx4 v[80:83], v150, s[16:19], 0 offen offset:1024// 00000000381C: E05C1400 80045096
	v_mfma_scale_f32_16x16x128_f8f6f4 a[88:91], v[92:95], v[24:27], a[88:91], v141, v137 op_sel_hi:[0,0,0] cbsz:4 blgp:4// 000000003824: D3AC6800 0003138D D3AD8C58 8562315C
	s_sub_u32 s22, s22, s68                                    // 000000003834: 80964416
	v_mfma_scale_f32_16x16x128_f8f6f4 a[92:95], v[92:95], v[28:31], a[92:95], v141, v137 op_sel_hi:[0,0,0] cbsz:4 blgp:4// 000000003838: D3AC7800 0003138D D3AD8C5C 8572395C
	buffer_load_dwordx4 v[84:87], v151, s[16:19], 0 offen offset:1024// 000000003848: E05C1400 80045497
	v_mfma_scale_f32_16x16x128_f8f6f4 a[80:83], v[96:99], v[32:35], a[80:83], v141, v137 op_sel_hi:[0,0,0] cbsz:4 blgp:4// 000000003850: D3AC6000 1803138D D3AD8C50 85424160
	v_mfma_scale_f32_16x16x128_f8f6f4 a[84:87], v[96:99], v[36:39], a[84:87], v141, v137 op_sel_hi:[0,0,0] cbsz:4 blgp:4// 000000003860: D3AC7000 1803138D D3AD8C54 85524960
	buffer_load_dword v140, v158, s[24:27], 0 offen            // 000000003870: E0501000 80068C9E
	v_mfma_scale_f32_16x16x128_f8f6f4 a[88:91], v[100:103], v[32:35], a[88:91], v141, v137 op_sel_hi:[0,0,0] cbsz:4 blgp:4// 000000003878: D3AC6800 1803138D D3AD8C58 85624164
	v_mfma_scale_f32_16x16x128_f8f6f4 a[92:95], v[100:103], v[36:39], a[92:95], v141, v137 op_sel_hi:[0,0,0] cbsz:4 blgp:4// 000000003888: D3AC7800 1803138D D3AD8C5C 85724964
	s_waitcnt vmcnt(13)                                        // 000000003898: BF8C0F7D
	v_mfma_scale_f32_16x16x128_f8f6f4 a[32:35], v[104:107], v[8:11], a[32:35], v142, v136 op_sel_hi:[0,0,0] cbsz:4 blgp:4// 00000000389C: D3AC6000 0003118E D3AD8C20 84821168
	v_mfma_scale_f32_16x16x128_f8f6f4 a[36:39], v[104:107], v[12:15], a[36:39], v142, v136 op_sel_hi:[0,0,0] cbsz:4 blgp:4// 0000000038AC: D3AC7000 0003118E D3AD8C24 84921968
	buffer_load_dwordx4 v[88:91], v152, s[16:19], 0 offen      // 0000000038BC: E05C1000 80045898
	v_mfma_scale_f32_16x16x128_f8f6f4 a[40:43], v[108:111], v[8:11], a[40:43], v142, v136 op_sel_hi:[0,0,0] cbsz:4 blgp:4// 0000000038C4: D3AC6800 0003118E D3AD8C28 84A2116C
	v_mfma_scale_f32_16x16x128_f8f6f4 a[44:47], v[108:111], v[12:15], a[44:47], v142, v136 op_sel_hi:[0,0,0] cbsz:4 blgp:4// 0000000038D4: D3AC7800 0003118E D3AD8C2C 84B2196C
	buffer_load_dwordx4 v[92:95], v153, s[16:19], 0 offen      // 0000000038E4: E05C1000 80045C99
	v_mfma_scale_f32_16x16x128_f8f6f4 a[32:35], v[112:115], v[16:19], a[32:35], v142, v136 op_sel_hi:[0,0,0] cbsz:4 blgp:4// 0000000038EC: D3AC6000 1803118E D3AD8C20 84822170
	v_mfma_scale_f32_16x16x128_f8f6f4 a[36:39], v[112:115], v[20:23], a[36:39], v142, v136 op_sel_hi:[0,0,0] cbsz:4 blgp:4// 0000000038FC: D3AC7000 1803118E D3AD8C24 84922970
	buffer_load_dwordx4 v[96:99], v152, s[16:19], 0 offen offset:1024// 00000000390C: E05C1400 80046098
	v_mfma_scale_f32_16x16x128_f8f6f4 a[40:43], v[116:119], v[16:19], a[40:43], v142, v136 op_sel_hi:[0,0,0] cbsz:4 blgp:4// 000000003914: D3AC6800 1803118E D3AD8C28 84A22174
	v_mfma_scale_f32_16x16x128_f8f6f4 a[44:47], v[116:119], v[20:23], a[44:47], v142, v136 op_sel_hi:[0,0,0] cbsz:4 blgp:4// 000000003924: D3AC5800 1803118E D3AD8C2C 84B22974
	buffer_load_dwordx4 v[100:103], v153, s[16:19], 0 offen offset:1024// 000000003934: E05C1400 80046499
	v_mfma_scale_f32_16x16x128_f8f6f4 a[96:99], v[104:107], v[24:27], a[96:99], v142, v137 op_sel_hi:[0,0,0] cbsz:4 blgp:4// 00000000393C: D3AC6000 0003138E D3AD8C60 85823168
	v_mfma_scale_f32_16x16x128_f8f6f4 a[100:103], v[104:107], v[28:31], a[100:103], v142, v137 op_sel_hi:[0,0,0] cbsz:4 blgp:4// 00000000394C: D3AC7000 0003138E D3AD8C64 85923968
	buffer_load_dword v141, v159, s[24:27], 0 offen            // 00000000395C: E0501000 80068D9F
	v_mfma_scale_f32_16x16x128_f8f6f4 a[104:107], v[108:111], v[24:27], a[104:107], v142, v137 op_sel_hi:[0,0,0] cbsz:4 blgp:4// 000000003964: D3AC6800 0003138E D3AD8C68 85A2316C
	v_mfma_scale_f32_16x16x128_f8f6f4 a[108:111], v[108:111], v[28:31], a[108:111], v142, v137 op_sel_hi:[0,0,0] cbsz:4 blgp:4// 000000003974: D3AC7800 0003138E D3AD8C6C 85B2396C
	v_mfma_scale_f32_16x16x128_f8f6f4 a[96:99], v[112:115], v[32:35], a[96:99], v142, v137 op_sel_hi:[0,0,0] cbsz:4 blgp:4// 000000003984: D3AC6000 1803138E D3AD8C60 85824170
	v_mfma_scale_f32_16x16x128_f8f6f4 a[100:103], v[112:115], v[36:39], a[100:103], v142, v137 op_sel_hi:[0,0,0] cbsz:4 blgp:4// 000000003994: D3AC7000 1803138E D3AD8C64 85924970
	v_mfma_scale_f32_16x16x128_f8f6f4 a[104:107], v[116:119], v[32:35], a[104:107], v142, v137 op_sel_hi:[0,0,0] cbsz:4 blgp:4// 0000000039A4: D3AC6800 1803138E D3AD8C68 85A24174
	v_mfma_scale_f32_16x16x128_f8f6f4 a[108:111], v[116:119], v[36:39], a[108:111], v142, v137 op_sel_hi:[0,0,0] cbsz:4 blgp:4// 0000000039B4: D3AC7800 1803138E D3AD8C6C 85B24974
	s_waitcnt vmcnt(10)                                        // 0000000039C4: BF8C0F7A
	s_barrier                                                  // 0000000039C8: BF8A0000
	v_mfma_scale_f32_16x16x128_f8f6f4 a[48:51], v[120:123], v[8:11], a[48:51], v143, v136 op_sel_hi:[0,0,0] cbsz:4 blgp:4// 0000000039CC: D3AC6000 0003118F D3AD8C30 84C21178
	s_addk_i32 s60, 0x100                                      // 0000000039DC: B73C0100
	ds_read_b128 v[40:43], v147                                // 0000000039E0: D9FE0000 28000093
	v_mfma_scale_f32_16x16x128_f8f6f4 a[52:55], v[120:123], v[12:15], a[52:55], v143, v136 op_sel_hi:[0,0,0] cbsz:4 blgp:4// 0000000039E8: D3AC7000 0003118F D3AD8C34 84D21978
	s_cmp_lt_i32 s60, s61                                      // 0000000039F8: BF043D3C
	buffer_load_dwordx4 v[104:107], v154, s[16:19], 0 offen    // 0000000039FC: E05C1000 8004689A
	v_mfma_scale_f32_16x16x128_f8f6f4 a[56:59], v[124:127], v[8:11], a[56:59], v143, v136 op_sel_hi:[0,0,0] cbsz:4 blgp:4// 000000003A04: D3AC6800 0003118F D3AD8C38 84E2117C
	ds_read_b128 v[48:51], v147 offset:64                      // 000000003A14: D9FE0040 30000093
	v_mfma_scale_f32_16x16x128_f8f6f4 a[60:63], v[124:127], v[12:15], a[60:63], v143, v136 op_sel_hi:[0,0,0] cbsz:4 blgp:4// 000000003A1C: D3AC7800 0003118F D3AD8C3C 84F2197C
	buffer_load_dwordx4 v[108:111], v155, s[16:19], 0 offen    // 000000003A2C: E05C1000 80046C9B
	v_mfma_scale_f32_16x16x128_f8f6f4 a[48:51], v[128:131], v[16:19], a[48:51], v143, v136 op_sel_hi:[0,0,0] cbsz:4 blgp:4// 000000003A34: D3AC6000 1803118F D3AD8C30 84C22180
	ds_read_b128 v[44:47], v147 offset:512                     // 000000003A44: D9FE0200 2C000093
	v_mfma_scale_f32_16x16x128_f8f6f4 a[52:55], v[128:131], v[20:23], a[52:55], v143, v136 op_sel_hi:[0,0,0] cbsz:4 blgp:4// 000000003A4C: D3AC7000 1803118F D3AD8C34 84D22980
	buffer_load_dwordx4 v[112:115], v154, s[16:19], 0 offen offset:1024// 000000003A5C: E05C1400 8004709A
	v_mfma_scale_f32_16x16x128_f8f6f4 a[56:59], v[132:135], v[16:19], a[56:59], v143, v136 op_sel_hi:[0,0,0] cbsz:4 blgp:4// 000000003A64: D3AC6800 1803118F D3AD8C38 84E22184
	ds_read_b128 v[52:55], v147 offset:576                     // 000000003A74: D9FE0240 34000093
	v_mfma_scale_f32_16x16x128_f8f6f4 a[60:63], v[132:135], v[20:23], a[60:63], v143, v136 op_sel_hi:[0,0,0] cbsz:4 blgp:4// 000000003A7C: D3AC7800 1803118F D3AD8C3C 84F22984
	buffer_load_dwordx4 v[116:119], v155, s[16:19], 0 offen offset:1024// 000000003A8C: E05C1400 8004749B
	ds_read_b32 v138, v149 offset:1024                         // 000000003A94: D86C0400 8A000095
	v_mfma_scale_f32_16x16x128_f8f6f4 a[112:115], v[120:123], v[24:27], a[112:115], v143, v137 op_sel_hi:[0,0,0] cbsz:4 blgp:4// 000000003A9C: D3AC6000 0003138F D3AD8C70 85C23178
	ds_read_b128 v[56:59], v147 offset:4224                    // 000000003AAC: D9FE1080 38000093
	v_mfma_scale_f32_16x16x128_f8f6f4 a[116:119], v[120:123], v[28:31], a[116:119], v143, v137 op_sel_hi:[0,0,0] cbsz:4 blgp:4// 000000003AB4: D3AC7000 0003138F D3AD8C74 85D23978
	buffer_load_dword v142, v160, s[24:27], 0 offen            // 000000003AC4: E0501000 80068EA0
	v_mfma_scale_f32_16x16x128_f8f6f4 a[120:123], v[124:127], v[24:27], a[120:123], v143, v137 op_sel_hi:[0,0,0] cbsz:4 blgp:4// 000000003ACC: D3AC6800 0003138F D3AD8C78 85E2317C
	ds_read_b128 v[64:67], v147 offset:4288                    // 000000003ADC: D9FE10C0 40000093
	v_mfma_scale_f32_16x16x128_f8f6f4 a[124:127], v[124:127], v[28:31], a[124:127], v143, v137 op_sel_hi:[0,0,0] cbsz:4 blgp:4// 000000003AE4: D3AC7800 0003138F D3AD8C7C 85F2397C
	v_mfma_scale_f32_16x16x128_f8f6f4 a[112:115], v[128:131], v[32:35], a[112:115], v143, v137 op_sel_hi:[0,0,0] cbsz:4 blgp:4// 000000003AF4: D3AC6000 1803138F D3AD8C70 85C24180
	ds_read_b128 v[60:63], v147 offset:4736                    // 000000003B04: D9FE1280 3C000093
	v_mfma_scale_f32_16x16x128_f8f6f4 a[116:119], v[128:131], v[36:39], a[116:119], v143, v137 op_sel_hi:[0,0,0] cbsz:4 blgp:4// 000000003B0C: D3AC7000 1803138F D3AD8C74 85D24980
	v_mfma_scale_f32_16x16x128_f8f6f4 a[120:123], v[132:135], v[32:35], a[120:123], v143, v137 op_sel_hi:[0,0,0] cbsz:4 blgp:4// 000000003B1C: D3AC6800 1803138F D3AD8C78 85E24184
	ds_read_b128 v[68:71], v147 offset:4800                    // 000000003B2C: D9FE12C0 44000093
	v_mfma_scale_f32_16x16x128_f8f6f4 a[124:127], v[132:135], v[36:39], a[124:127], v143, v137 op_sel_hi:[0,0,0] cbsz:4 blgp:4// 000000003B34: D3AC7800 1803138F D3AD8C7C 85F24984
	ds_read_b32 v139, v149 offset:1280                         // 000000003B44: D86C0500 8B000095
	s_cbranch_scc0 label_0807                                  // 000000003B4C: BF840433
	s_waitcnt vmcnt(10) lgkmcnt(5)                             // 000000003B50: BF8C057A
	v_mfma_scale_f32_16x16x128_f8f6f4 a[0:3], v[72:75], v[40:43], a[0:3], v140, v138 op_sel_hi:[0,0,0] cbsz:4 blgp:4// 000000003B54: D3AC6000 0003158C D3AD8C00 84025148
	s_add_u32 s63, 0x100, s60                                  // 000000003B64: 803F3CFF 00000100
	s_cmp_lt_u32 s63, s61                                      // 000000003B6C: BF0A3D3F
	v_mfma_scale_f32_16x16x128_f8f6f4 a[4:7], v[72:75], v[44:47], a[4:7], v140, v138 op_sel_hi:[0,0,0] cbsz:4 blgp:4// 000000003B70: D3AC7000 0003158C D3AD8C04 84125948
	s_cselect_b32 s67, s67, 0                                  // 000000003B80: 85438043
	buffer_load_dwordx4 v[120:123], v156, s[16:19], 0 offen    // 000000003B84: E05C1000 8004789C
	v_mfma_scale_f32_16x16x128_f8f6f4 a[8:11], v[76:79], v[40:43], a[8:11], v140, v138 op_sel_hi:[0,0,0] cbsz:4 blgp:4// 000000003B8C: D3AC6800 0003158C D3AD8C08 8422514C
	s_cselect_b32 s69, s69, 0                                  // 000000003B9C: 85458045
	v_mfma_scale_f32_16x16x128_f8f6f4 a[12:15], v[76:79], v[44:47], a[12:15], v140, v138 op_sel_hi:[0,0,0] cbsz:4 blgp:4// 000000003BA0: D3AC7800 0003158C D3AD8C0C 8432594C
	buffer_load_dwordx4 v[124:127], v157, s[16:19], 0 offen    // 000000003BB0: E05C1000 80047C9D
	v_mfma_scale_f32_16x16x128_f8f6f4 a[0:3], v[80:83], v[48:51], a[0:3], v140, v138 op_sel_hi:[0,0,0] cbsz:4 blgp:4// 000000003BB8: D3AC6000 1803158C D3AD8C00 84026150
	v_mfma_scale_f32_16x16x128_f8f6f4 a[4:7], v[80:83], v[52:55], a[4:7], v140, v138 op_sel_hi:[0,0,0] cbsz:4 blgp:4// 000000003BC8: D3AC7000 1803158C D3AD8C04 84126950
	buffer_load_dwordx4 v[128:131], v156, s[16:19], 0 offen offset:1024// 000000003BD8: E05C1400 8004809C
	v_mfma_scale_f32_16x16x128_f8f6f4 a[8:11], v[84:87], v[48:51], a[8:11], v140, v138 op_sel_hi:[0,0,0] cbsz:4 blgp:4// 000000003BE0: D3AC6800 1803158C D3AD8C08 84226154
	v_mfma_scale_f32_16x16x128_f8f6f4 a[12:15], v[84:87], v[52:55], a[12:15], v140, v138 op_sel_hi:[0,0,0] cbsz:4 blgp:4// 000000003BF0: D3AC7800 1803158C D3AD8C0C 84326954
	buffer_load_dwordx4 v[132:135], v157, s[16:19], 0 offen offset:1024// 000000003C00: E05C1400 8004849D
	s_waitcnt lgkmcnt(0)                                       // 000000003C08: BF8CC07F
	v_mfma_scale_f32_16x16x128_f8f6f4 a[64:67], v[72:75], v[56:59], a[64:67], v140, v139 op_sel_hi:[0,0,0] cbsz:4 blgp:4// 000000003C0C: D3AC6000 0003178C D3AD8C40 85027148
	v_mfma_scale_f32_16x16x128_f8f6f4 a[68:71], v[72:75], v[60:63], a[68:71], v140, v139 op_sel_hi:[0,0,0] cbsz:4 blgp:4// 000000003C1C: D3AC7000 0003178C D3AD8C44 85127948
	buffer_load_dword v143, v161, s[24:27], 0 offen            // 000000003C2C: E0501000 80068FA1
	v_mfma_scale_f32_16x16x128_f8f6f4 a[72:75], v[76:79], v[56:59], a[72:75], v140, v139 op_sel_hi:[0,0,0] cbsz:4 blgp:4// 000000003C34: D3AC6800 0003178C D3AD8C48 8522714C
	s_add_u32 s16, s16, s67                                    // 000000003C44: 80104310
	s_addc_u32 s17, 0, s17                                     // 000000003C48: 82111180
	v_mfma_scale_f32_16x16x128_f8f6f4 a[76:79], v[76:79], v[60:63], a[76:79], v140, v139 op_sel_hi:[0,0,0] cbsz:4 blgp:4// 000000003C4C: D3AC7800 0003178C D3AD8C4C 8532794C
	s_sub_u32 s18, s18, s67                                    // 000000003C5C: 80924312
	s_add_u32 s24, s24, s69                                    // 000000003C60: 80184518
	v_mfma_scale_f32_16x16x128_f8f6f4 a[64:67], v[80:83], v[64:67], a[64:67], v140, v139 op_sel_hi:[0,0,0] cbsz:4 blgp:4// 000000003C64: D3AC2000 1803178C D3AD8C40 85028150
	s_addc_u32 s25, 0, s25                                     // 000000003C74: 82191980
	s_sub_u32 s26, s26, s69                                    // 000000003C78: 809A451A
	v_mfma_scale_f32_16x16x128_f8f6f4 a[68:71], v[80:83], v[68:71], a[68:71], v140, v139 op_sel_hi:[0,0,0] cbsz:4 blgp:4// 000000003C7C: D3AC7000 1803178C D3AD8C44 85128950
	s_add_u32 m0, 0, s65                                       // 000000003C8C: 807C4180
	buffer_load_dword v148, s[20:23], 0 offen lds              // 000000003C90: E0511000 80050094
	v_mfma_scale_f32_16x16x128_f8f6f4 a[72:75], v[84:87], v[64:67], a[72:75], v140, v139 op_sel_hi:[0,0,0] cbsz:4 blgp:4// 000000003C98: D3AC6800 1803178C D3AD8C48 85228154
	v_mfma_scale_f32_16x16x128_f8f6f4 a[76:79], v[84:87], v[68:71], a[76:79], v140, v139 op_sel_hi:[0,0,0] cbsz:4 blgp:4// 000000003CA8: D3AC5800 1803178C D3AD8C4C 85328954
	s_waitcnt vmcnt(11)                                        // 000000003CB8: BF8C0F7B
	v_mfma_scale_f32_16x16x128_f8f6f4 a[16:19], v[88:91], v[40:43], a[16:19], v141, v138 op_sel_hi:[0,0,0] cbsz:4 blgp:4// 000000003CBC: D3AC6000 0003158D D3AD8C10 84425158
	v_mfma_scale_f32_16x16x128_f8f6f4 a[20:23], v[88:91], v[44:47], a[20:23], v141, v138 op_sel_hi:[0,0,0] cbsz:4 blgp:4// 000000003CCC: D3AC5000 0003158D D3AD8C14 84525958
	s_add_u32 m0, 0, s64                                       // 000000003CDC: 807C4080
	buffer_load_dwordx4 v144, s[12:15], 0 offen lds            // 000000003CE0: E05D1000 80030090
	v_mfma_scale_f32_16x16x128_f8f6f4 a[24:27], v[92:95], v[40:43], a[24:27], v141, v138 op_sel_hi:[0,0,0] cbsz:4 blgp:4// 000000003CE8: D3AC6800 0003158D D3AD8C18 8462515C
	v_mfma_scale_f32_16x16x128_f8f6f4 a[28:31], v[92:95], v[44:47], a[28:31], v141, v138 op_sel_hi:[0,0,0] cbsz:4 blgp:4// 000000003CF8: D3AC5800 0003158D D3AD8C1C 8472595C
	s_add_u32 m0, 0x1080, s64                                  // 000000003D08: 807C40FF 00001080
	buffer_load_dwordx4 v145, s[12:15], 0 offen lds            // 000000003D10: E05D1000 80030091
	v_mfma_scale_f32_16x16x128_f8f6f4 a[16:19], v[96:99], v[48:51], a[16:19], v141, v138 op_sel_hi:[0,0,0] cbsz:4 blgp:4// 000000003D18: D3AC6000 1803158D D3AD8C10 84426160
	s_add_u32 s62, 0x200, s60                                  // 000000003D28: 803E3CFF 00000200
	s_cmp_lt_u32 s62, s61                                      // 000000003D30: BF0A3D3E
	v_mfma_scale_f32_16x16x128_f8f6f4 a[20:23], v[96:99], v[52:55], a[20:23], v141, v138 op_sel_hi:[0,0,0] cbsz:4 blgp:4// 000000003D34: D3AC7000 1803158D D3AD8C14 84526960
	s_cselect_b32 s66, s66, 0                                  // 000000003D44: 85428042
	buffer_load_dwordx4 v[72:75], v150, s[16:19], 0 offen      // 000000003D48: E05C1000 80044896
	v_mfma_scale_f32_16x16x128_f8f6f4 a[24:27], v[100:103], v[48:51], a[24:27], v141, v138 op_sel_hi:[0,0,0] cbsz:4 blgp:4// 000000003D50: D3AC6800 1803158D D3AD8C18 84626164
	s_cselect_b32 s68, s68, 0                                  // 000000003D60: 85448044
	s_add_u32 s12, s12, s66                                    // 000000003D64: 800C420C
	v_mfma_scale_f32_16x16x128_f8f6f4 a[28:31], v[100:103], v[52:55], a[28:31], v141, v138 op_sel_hi:[0,0,0] cbsz:4 blgp:4// 000000003D68: D3AC7800 1803158D D3AD8C1C 84726964
	s_addc_u32 s13, 0, s13                                     // 000000003D78: 820D0D80
	buffer_load_dwordx4 v[76:79], v151, s[16:19], 0 offen      // 000000003D7C: E05C1000 80044C97
	v_mfma_scale_f32_16x16x128_f8f6f4 a[80:83], v[88:91], v[56:59], a[80:83], v141, v139 op_sel_hi:[0,0,0] cbsz:4 blgp:4// 000000003D84: D3AC4000 0003178D D3AD8C50 85427158
	s_sub_u32 s14, s14, s66                                    // 000000003D94: 808E420E
	s_add_u32 s20, s20, s68                                    // 000000003D98: 80144414
	v_mfma_scale_f32_16x16x128_f8f6f4 a[84:87], v[88:91], v[60:63], a[84:87], v141, v139 op_sel_hi:[0,0,0] cbsz:4 blgp:4// 000000003D9C: D3AC5000 0003178D D3AD8C54 85527958
	s_addc_u32 s21, 0, s21                                     // 000000003DAC: 82151580
	buffer_load_dwordx4 v[80:83], v150, s[16:19], 0 offen offset:1024// 000000003DB0: E05C1400 80045096
	v_mfma_scale_f32_16x16x128_f8f6f4 a[88:91], v[92:95], v[56:59], a[88:91], v141, v139 op_sel_hi:[0,0,0] cbsz:4 blgp:4// 000000003DB8: D3AC6800 0003178D D3AD8C58 8562715C
	s_sub_u32 s22, s22, s68                                    // 000000003DC8: 80964416
	v_mfma_scale_f32_16x16x128_f8f6f4 a[92:95], v[92:95], v[60:63], a[92:95], v141, v139 op_sel_hi:[0,0,0] cbsz:4 blgp:4// 000000003DCC: D3AC5800 0003178D D3AD8C5C 8572795C
	buffer_load_dwordx4 v[84:87], v151, s[16:19], 0 offen offset:1024// 000000003DDC: E05C1400 80045497
	v_mfma_scale_f32_16x16x128_f8f6f4 a[80:83], v[96:99], v[64:67], a[80:83], v141, v139 op_sel_hi:[0,0,0] cbsz:4 blgp:4// 000000003DE4: D3AC6000 1803178D D3AD8C50 85428160
	v_mfma_scale_f32_16x16x128_f8f6f4 a[84:87], v[96:99], v[68:71], a[84:87], v141, v139 op_sel_hi:[0,0,0] cbsz:4 blgp:4// 000000003DF4: D3AC5000 1803178D D3AD8C54 85528960
	buffer_load_dword v140, v158, s[24:27], 0 offen            // 000000003E04: E0501000 80068C9E
	v_mfma_scale_f32_16x16x128_f8f6f4 a[88:91], v[100:103], v[64:67], a[88:91], v141, v139 op_sel_hi:[0,0,0] cbsz:4 blgp:4// 000000003E0C: D3AC6800 1803178D D3AD8C58 85628164
	v_mfma_scale_f32_16x16x128_f8f6f4 a[92:95], v[100:103], v[68:71], a[92:95], v141, v139 op_sel_hi:[0,0,0] cbsz:4 blgp:4// 000000003E1C: D3AC7800 1803178D D3AD8C5C 85728964
	s_waitcnt vmcnt(13)                                        // 000000003E2C: BF8C0F7D
	v_mfma_scale_f32_16x16x128_f8f6f4 a[32:35], v[104:107], v[40:43], a[32:35], v142, v138 op_sel_hi:[0,0,0] cbsz:4 blgp:4// 000000003E30: D3AC6000 0003158E D3AD8C20 84825168
	v_mfma_scale_f32_16x16x128_f8f6f4 a[36:39], v[104:107], v[44:47], a[36:39], v142, v138 op_sel_hi:[0,0,0] cbsz:4 blgp:4// 000000003E40: D3AC7000 0003158E D3AD8C24 84925968
	buffer_load_dwordx4 v[88:91], v152, s[16:19], 0 offen      // 000000003E50: E05C1000 80045898
	v_mfma_scale_f32_16x16x128_f8f6f4 a[40:43], v[108:111], v[40:43], a[40:43], v142, v138 op_sel_hi:[0,0,0] cbsz:4 blgp:4// 000000003E58: D3AC6800 0003158E D3AD8C28 84A2516C
	v_mfma_scale_f32_16x16x128_f8f6f4 a[44:47], v[108:111], v[44:47], a[44:47], v142, v138 op_sel_hi:[0,0,0] cbsz:4 blgp:4// 000000003E68: D3AC7800 0003158E D3AD8C2C 84B2596C
	buffer_load_dwordx4 v[92:95], v153, s[16:19], 0 offen      // 000000003E78: E05C1000 80045C99
	v_mfma_scale_f32_16x16x128_f8f6f4 a[32:35], v[112:115], v[48:51], a[32:35], v142, v138 op_sel_hi:[0,0,0] cbsz:4 blgp:4// 000000003E80: D3AC6000 1803158E D3AD8C20 84826170
	v_mfma_scale_f32_16x16x128_f8f6f4 a[36:39], v[112:115], v[52:55], a[36:39], v142, v138 op_sel_hi:[0,0,0] cbsz:4 blgp:4// 000000003E90: D3AC7000 1803158E D3AD8C24 84926970
	buffer_load_dwordx4 v[96:99], v152, s[16:19], 0 offen offset:1024// 000000003EA0: E05C1400 80046098
	v_mfma_scale_f32_16x16x128_f8f6f4 a[40:43], v[116:119], v[48:51], a[40:43], v142, v138 op_sel_hi:[0,0,0] cbsz:4 blgp:4// 000000003EA8: D3AC6800 1803158E D3AD8C28 84A26174
	v_mfma_scale_f32_16x16x128_f8f6f4 a[44:47], v[116:119], v[52:55], a[44:47], v142, v138 op_sel_hi:[0,0,0] cbsz:4 blgp:4// 000000003EB8: D3AC7800 1803158E D3AD8C2C 84B26974
	buffer_load_dwordx4 v[100:103], v153, s[16:19], 0 offen offset:1024// 000000003EC8: E05C1400 80046499
	v_mfma_scale_f32_16x16x128_f8f6f4 a[96:99], v[104:107], v[56:59], a[96:99], v142, v139 op_sel_hi:[0,0,0] cbsz:4 blgp:4// 000000003ED0: D3AC6000 0003178E D3AD8C60 85827168
	v_mfma_scale_f32_16x16x128_f8f6f4 a[100:103], v[104:107], v[60:63], a[100:103], v142, v139 op_sel_hi:[0,0,0] cbsz:4 blgp:4// 000000003EE0: D3AC7000 0003178E D3AD8C64 85927968
	buffer_load_dword v141, v159, s[24:27], 0 offen            // 000000003EF0: E0501000 80068D9F
	v_mfma_scale_f32_16x16x128_f8f6f4 a[104:107], v[108:111], v[56:59], a[104:107], v142, v139 op_sel_hi:[0,0,0] cbsz:4 blgp:4// 000000003EF8: D3AC6800 0003178E D3AD8C68 85A2716C
	v_mfma_scale_f32_16x16x128_f8f6f4 a[108:111], v[108:111], v[60:63], a[108:111], v142, v139 op_sel_hi:[0,0,0] cbsz:4 blgp:4// 000000003F08: D3AC7800 0003178E D3AD8C6C 85B2796C
	v_mfma_scale_f32_16x16x128_f8f6f4 a[96:99], v[112:115], v[64:67], a[96:99], v142, v139 op_sel_hi:[0,0,0] cbsz:4 blgp:4// 000000003F18: D3AC6000 1803178E D3AD8C60 85828170
	v_mfma_scale_f32_16x16x128_f8f6f4 a[100:103], v[112:115], v[68:71], a[100:103], v142, v139 op_sel_hi:[0,0,0] cbsz:4 blgp:4// 000000003F28: D3AC7000 1803178E D3AD8C64 85928970
	v_mfma_scale_f32_16x16x128_f8f6f4 a[104:107], v[116:119], v[64:67], a[104:107], v142, v139 op_sel_hi:[0,0,0] cbsz:4 blgp:4// 000000003F38: D3AC6800 1803178E D3AD8C68 85A28174
	v_mfma_scale_f32_16x16x128_f8f6f4 a[108:111], v[116:119], v[68:71], a[108:111], v142, v139 op_sel_hi:[0,0,0] cbsz:4 blgp:4// 000000003F48: D3AC7800 1803178E D3AD8C6C 85B28974
	s_waitcnt vmcnt(10)                                        // 000000003F58: BF8C0F7A
	s_barrier                                                  // 000000003F5C: BF8A0000
	v_mfma_scale_f32_16x16x128_f8f6f4 a[48:51], v[120:123], v[40:43], a[48:51], v143, v138 op_sel_hi:[0,0,0] cbsz:4 blgp:4// 000000003F60: D3AC6000 0003158F D3AD8C30 84C25178
	s_addk_i32 s60, 0x100                                      // 000000003F70: B73C0100
	ds_read_b128 v[8:11], v146                                 // 000000003F74: D9FE0000 08000092
	v_mfma_scale_f32_16x16x128_f8f6f4 a[52:55], v[120:123], v[44:47], a[52:55], v143, v138 op_sel_hi:[0,0,0] cbsz:4 blgp:4// 000000003F7C: D3AC7000 0003158F D3AD8C34 84D25978
	s_cmp_lt_i32 s60, s61                                      // 000000003F8C: BF043D3C
	buffer_load_dwordx4 v[104:107], v154, s[16:19], 0 offen    // 000000003F90: E05C1000 8004689A
	v_mfma_scale_f32_16x16x128_f8f6f4 a[56:59], v[124:127], v[40:43], a[56:59], v143, v138 op_sel_hi:[0,0,0] cbsz:4 blgp:4// 000000003F98: D3AC6800 0003158F D3AD8C38 84E2517C
	ds_read_b128 v[16:19], v146 offset:64                      // 000000003FA8: D9FE0040 10000092
	v_mfma_scale_f32_16x16x128_f8f6f4 a[60:63], v[124:127], v[44:47], a[60:63], v143, v138 op_sel_hi:[0,0,0] cbsz:4 blgp:4// 000000003FB0: D3AC7800 0003158F D3AD8C3C 84F2597C
	buffer_load_dwordx4 v[108:111], v155, s[16:19], 0 offen    // 000000003FC0: E05C1000 80046C9B
	v_mfma_scale_f32_16x16x128_f8f6f4 a[48:51], v[128:131], v[48:51], a[48:51], v143, v138 op_sel_hi:[0,0,0] cbsz:4 blgp:4// 000000003FC8: D3AC6000 1803158F D3AD8C30 84C26180
	ds_read_b128 v[12:15], v146 offset:512                     // 000000003FD8: D9FE0200 0C000092
	v_mfma_scale_f32_16x16x128_f8f6f4 a[52:55], v[128:131], v[52:55], a[52:55], v143, v138 op_sel_hi:[0,0,0] cbsz:4 blgp:4// 000000003FE0: D3AC7000 1803158F D3AD8C34 84D26980
	buffer_load_dwordx4 v[112:115], v154, s[16:19], 0 offen offset:1024// 000000003FF0: E05C1400 8004709A
	v_mfma_scale_f32_16x16x128_f8f6f4 a[56:59], v[132:135], v[48:51], a[56:59], v143, v138 op_sel_hi:[0,0,0] cbsz:4 blgp:4// 000000003FF8: D3AC6800 1803158F D3AD8C38 84E26184
	ds_read_b128 v[20:23], v146 offset:576                     // 000000004008: D9FE0240 14000092
	v_mfma_scale_f32_16x16x128_f8f6f4 a[60:63], v[132:135], v[52:55], a[60:63], v143, v138 op_sel_hi:[0,0,0] cbsz:4 blgp:4// 000000004010: D3AC7800 1803158F D3AD8C3C 84F26984
	buffer_load_dwordx4 v[116:119], v155, s[16:19], 0 offen offset:1024// 000000004020: E05C1400 8004749B
	ds_read_b32 v136, v149                                     // 000000004028: D86C0000 88000095
	v_mfma_scale_f32_16x16x128_f8f6f4 a[112:115], v[120:123], v[56:59], a[112:115], v143, v139 op_sel_hi:[0,0,0] cbsz:4 blgp:4// 000000004030: D3AC6000 0003178F D3AD8C70 85C27178
	ds_read_b128 v[24:27], v146 offset:4224                    // 000000004040: D9FE1080 18000092
	v_mfma_scale_f32_16x16x128_f8f6f4 a[116:119], v[120:123], v[60:63], a[116:119], v143, v139 op_sel_hi:[0,0,0] cbsz:4 blgp:4// 000000004048: D3AC7000 0003178F D3AD8C74 85D27978
	buffer_load_dword v142, v160, s[24:27], 0 offen            // 000000004058: E0501000 80068EA0
	v_mfma_scale_f32_16x16x128_f8f6f4 a[120:123], v[124:127], v[56:59], a[120:123], v143, v139 op_sel_hi:[0,0,0] cbsz:4 blgp:4// 000000004060: D3AC6800 0003178F D3AD8C78 85E2717C
	ds_read_b128 v[32:35], v146 offset:4288                    // 000000004070: D9FE10C0 20000092
	v_mfma_scale_f32_16x16x128_f8f6f4 a[124:127], v[124:127], v[60:63], a[124:127], v143, v139 op_sel_hi:[0,0,0] cbsz:4 blgp:4// 000000004078: D3AC7800 0003178F D3AD8C7C 85F2797C
	v_mfma_scale_f32_16x16x128_f8f6f4 a[112:115], v[128:131], v[64:67], a[112:115], v143, v139 op_sel_hi:[0,0,0] cbsz:4 blgp:4// 000000004088: D3AC0000 1803178F D3AD8C70 85C28180
	ds_read_b128 v[28:31], v146 offset:4736                    // 000000004098: D9FE1280 1C000092
	v_mfma_scale_f32_16x16x128_f8f6f4 a[116:119], v[128:131], v[68:71], a[116:119], v143, v139 op_sel_hi:[0,0,0] cbsz:4 blgp:4// 0000000040A0: D3AC1000 1803178F D3AD8C74 85D28980
	v_mfma_scale_f32_16x16x128_f8f6f4 a[120:123], v[132:135], v[64:67], a[120:123], v143, v139 op_sel_hi:[0,0,0] cbsz:4 blgp:4// 0000000040B0: D3AC0800 1803178F D3AD8C78 85E28184
	ds_read_b128 v[36:39], v146 offset:4800                    // 0000000040C0: D9FE12C0 24000092
	v_mfma_scale_f32_16x16x128_f8f6f4 a[124:127], v[132:135], v[68:71], a[124:127], v143, v139 op_sel_hi:[0,0,0] cbsz:4 blgp:4// 0000000040C8: D3AC7800 1803178F D3AD8C7C 85F28984
	ds_read_b32 v137, v149 offset:256                          // 0000000040D8: D86C0100 89000095
	s_cbranch_scc0 label_0807                                  // 0000000040E0: BF8402CE
	s_branch label_026D                                        // 0000000040E4: BF82FD33

00000000000040e8 <label_053A>:
	s_waitcnt vmcnt(10) lgkmcnt(5)                             // 0000000040E8: BF8C057A
	v_mfma_scale_f32_16x16x128_f8f6f4 a[0:3], v[72:75], v[8:11], a[0:3], v140, v136 op_sel_hi:[0,0,0] cbsz:4 blgp:4// 0000000040EC: D3AC6000 0003118C D3AD8C00 84021148
	s_add_u32 s63, 0x100, s60                                  // 0000000040FC: 803F3CFF 00000100
	buffer_load_dwordx4 v[120:123], v156, s[16:19], 0 offen    // 000000004104: E05C1000 8004789C
	v_mfma_scale_f32_16x16x128_f8f6f4 a[4:7], v[72:75], v[12:15], a[4:7], v140, v136 op_sel_hi:[0,0,0] cbsz:4 blgp:4// 00000000410C: D3AC7000 0003118C D3AD8C04 84121948
	s_cmp_lt_u32 s63, s61                                      // 00000000411C: BF0A3D3F
	s_cselect_b32 s67, s67, 0                                  // 000000004120: 85438043
	v_mfma_scale_f32_16x16x128_f8f6f4 a[8:11], v[76:79], v[8:11], a[8:11], v140, v136 op_sel_hi:[0,0,0] cbsz:4 blgp:4// 000000004124: D3AC6800 0003118C D3AD8C08 8422114C
	s_cselect_b32 s69, s69, 0                                  // 000000004134: 85458045
	buffer_load_dwordx4 v[124:127], v157, s[16:19], 0 offen    // 000000004138: E05C1000 80047C9D
	v_mfma_scale_f32_16x16x128_f8f6f4 a[12:15], v[76:79], v[12:15], a[12:15], v140, v136 op_sel_hi:[0,0,0] cbsz:4 blgp:4// 000000004140: D3AC7800 0003118C D3AD8C0C 8432194C
	v_mfma_scale_f32_16x16x128_f8f6f4 a[0:3], v[80:83], v[16:19], a[0:3], v140, v136 op_sel_hi:[0,0,0] cbsz:4 blgp:4// 000000004150: D3AC6000 1803118C D3AD8C00 84022150
	buffer_load_dwordx4 v[128:131], v156, s[16:19], 0 offen offset:1024// 000000004160: E05C1400 8004809C
	v_mfma_scale_f32_16x16x128_f8f6f4 a[4:7], v[80:83], v[20:23], a[4:7], v140, v136 op_sel_hi:[0,0,0] cbsz:4 blgp:4// 000000004168: D3AC7000 1803118C D3AD8C04 84122950
	v_mfma_scale_f32_16x16x128_f8f6f4 a[8:11], v[84:87], v[16:19], a[8:11], v140, v136 op_sel_hi:[0,0,0] cbsz:4 blgp:4// 000000004178: D3AC6800 1803118C D3AD8C08 84222154
	buffer_load_dwordx4 v[132:135], v157, s[16:19], 0 offen offset:1024// 000000004188: E05C1400 8004849D
	v_mfma_scale_f32_16x16x128_f8f6f4 a[12:15], v[84:87], v[20:23], a[12:15], v140, v136 op_sel_hi:[0,0,0] cbsz:4 blgp:4// 000000004190: D3AC7800 1803118C D3AD8C0C 84322954
	s_waitcnt lgkmcnt(0)                                       // 0000000041A0: BF8CC07F
	v_mfma_scale_f32_16x16x128_f8f6f4 a[64:67], v[72:75], v[24:27], a[64:67], v140, v137 op_sel_hi:[0,0,0] cbsz:4 blgp:4// 0000000041A4: D3AC6000 0003138C D3AD8C40 85023148
	buffer_load_dword v143, v161, s[24:27], 0 offen            // 0000000041B4: E0501000 80068FA1
	v_mfma_scale_f32_16x16x128_f8f6f4 a[68:71], v[72:75], v[28:31], a[68:71], v140, v137 op_sel_hi:[0,0,0] cbsz:4 blgp:4// 0000000041BC: D3AC7000 0003138C D3AD8C44 85123948
	s_add_u32 s16, s16, s67                                    // 0000000041CC: 80104310
	s_addc_u32 s17, 0, s17                                     // 0000000041D0: 82111180
	v_mfma_scale_f32_16x16x128_f8f6f4 a[72:75], v[76:79], v[24:27], a[72:75], v140, v137 op_sel_hi:[0,0,0] cbsz:4 blgp:4// 0000000041D4: D3AC6800 0003138C D3AD8C48 8522314C
	s_sub_u32 s18, s18, s67                                    // 0000000041E4: 80924312
	s_add_u32 s24, s24, s69                                    // 0000000041E8: 80184518
	v_mfma_scale_f32_16x16x128_f8f6f4 a[76:79], v[76:79], v[28:31], a[76:79], v140, v137 op_sel_hi:[0,0,0] cbsz:4 blgp:4// 0000000041EC: D3AC7800 0003138C D3AD8C4C 8532394C
	s_addc_u32 s25, 0, s25                                     // 0000000041FC: 82191980
	s_sub_u32 s26, s26, s69                                    // 000000004200: 809A451A
	v_mfma_scale_f32_16x16x128_f8f6f4 a[64:67], v[80:83], v[32:35], a[64:67], v140, v137 op_sel_hi:[0,0,0] cbsz:4 blgp:4// 000000004204: D3AC6000 1803138C D3AD8C40 85024150
	s_add_u32 m0, 0x400, s65                                   // 000000004214: 807C41FF 00000400
	buffer_load_dword v148, s[20:23], 0 offen lds              // 00000000421C: E0511000 80050094
	v_mfma_scale_f32_16x16x128_f8f6f4 a[68:71], v[80:83], v[36:39], a[68:71], v140, v137 op_sel_hi:[0,0,0] cbsz:4 blgp:4// 000000004224: D3AC7000 1803138C D3AD8C44 85124950
	v_mfma_scale_f32_16x16x128_f8f6f4 a[72:75], v[84:87], v[32:35], a[72:75], v140, v137 op_sel_hi:[0,0,0] cbsz:4 blgp:4// 000000004234: D3AC6800 1803138C D3AD8C48 85224154
	v_mfma_scale_f32_16x16x128_f8f6f4 a[76:79], v[84:87], v[36:39], a[76:79], v140, v137 op_sel_hi:[0,0,0] cbsz:4 blgp:4// 000000004244: D3AC7800 1803138C D3AD8C4C 85324954
	s_waitcnt vmcnt(11)                                        // 000000004254: BF8C0F7B
	v_mfma_scale_f32_16x16x128_f8f6f4 a[16:19], v[88:91], v[8:11], a[16:19], v141, v136 op_sel_hi:[0,0,0] cbsz:4 blgp:4// 000000004258: D3AC6000 0003118D D3AD8C10 84421158
	s_add_u32 m0, 0x2100, s64                                  // 000000004268: 807C40FF 00002100
	buffer_load_dwordx4 v144, s[12:15], 0 offen lds            // 000000004270: E05D1000 80030090
	v_mfma_scale_f32_16x16x128_f8f6f4 a[20:23], v[88:91], v[12:15], a[20:23], v141, v136 op_sel_hi:[0,0,0] cbsz:4 blgp:4// 000000004278: D3AC7000 0003118D D3AD8C14 84521958
	v_mfma_scale_f32_16x16x128_f8f6f4 a[24:27], v[92:95], v[8:11], a[24:27], v141, v136 op_sel_hi:[0,0,0] cbsz:4 blgp:4// 000000004288: D3AC6800 0003118D D3AD8C18 8462115C
	s_add_u32 m0, 0x3180, s64                                  // 000000004298: 807C40FF 00003180
	buffer_load_dwordx4 v145, s[12:15], 0 offen lds            // 0000000042A0: E05D1000 80030091
	v_mfma_scale_f32_16x16x128_f8f6f4 a[28:31], v[92:95], v[12:15], a[28:31], v141, v136 op_sel_hi:[0,0,0] cbsz:4 blgp:4// 0000000042A8: D3AC7800 0003118D D3AD8C1C 8472195C
	s_add_u32 s62, 0x200, s60                                  // 0000000042B8: 803E3CFF 00000200
	s_cmp_lt_u32 s62, s61                                      // 0000000042C0: BF0A3D3E
	v_mfma_scale_f32_16x16x128_f8f6f4 a[16:19], v[96:99], v[16:19], a[16:19], v141, v136 op_sel_hi:[0,0,0] cbsz:4 blgp:4// 0000000042C4: D3AC6000 1803118D D3AD8C10 84422160
	s_cselect_b32 s66, s66, 0                                  // 0000000042D4: 85428042
	buffer_load_dwordx4 v[72:75], v150, s[16:19], 0 offen      // 0000000042D8: E05C1000 80044896
	v_mfma_scale_f32_16x16x128_f8f6f4 a[20:23], v[96:99], v[20:23], a[20:23], v141, v136 op_sel_hi:[0,0,0] cbsz:4 blgp:4// 0000000042E0: D3AC7000 1803118D D3AD8C14 84522960
	s_cselect_b32 s68, s68, 0                                  // 0000000042F0: 85448044
	s_add_u32 s12, s12, s66                                    // 0000000042F4: 800C420C
	v_mfma_scale_f32_16x16x128_f8f6f4 a[24:27], v[100:103], v[16:19], a[24:27], v141, v136 op_sel_hi:[0,0,0] cbsz:4 blgp:4// 0000000042F8: D3AC6800 1803118D D3AD8C18 84622164
	s_addc_u32 s13, 0, s13                                     // 000000004308: 820D0D80
	buffer_load_dwordx4 v[76:79], v151, s[16:19], 0 offen      // 00000000430C: E05C1000 80044C97
	v_mfma_scale_f32_16x16x128_f8f6f4 a[28:31], v[100:103], v[20:23], a[28:31], v141, v136 op_sel_hi:[0,0,0] cbsz:4 blgp:4// 000000004314: D3AC7800 1803118D D3AD8C1C 84722964
	s_sub_u32 s14, s14, s66                                    // 000000004324: 808E420E
	s_add_u32 s20, s20, s68                                    // 000000004328: 80144414
	v_mfma_scale_f32_16x16x128_f8f6f4 a[80:83], v[88:91], v[24:27], a[80:83], v141, v137 op_sel_hi:[0,0,0] cbsz:4 blgp:4// 00000000432C: D3AC6000 0003138D D3AD8C50 85423158
	s_addc_u32 s21, 0, s21                                     // 00000000433C: 82151580
	buffer_load_dwordx4 v[80:83], v150, s[16:19], 0 offen offset:1024// 000000004340: E05C1400 80045096
	v_mfma_scale_f32_16x16x128_f8f6f4 a[84:87], v[88:91], v[28:31], a[84:87], v141, v137 op_sel_hi:[0,0,0] cbsz:4 blgp:4// 000000004348: D3AC7000 0003138D D3AD8C54 85523958
	s_sub_u32 s22, s22, s68                                    // 000000004358: 80964416
	v_mfma_scale_f32_16x16x128_f8f6f4 a[88:91], v[92:95], v[24:27], a[88:91], v141, v137 op_sel_hi:[0,0,0] cbsz:4 blgp:4// 00000000435C: D3AC6800 0003138D D3AD8C58 8562315C
	buffer_load_dwordx4 v[84:87], v151, s[16:19], 0 offen offset:1024// 00000000436C: E05C1400 80045497
	v_mfma_scale_f32_16x16x128_f8f6f4 a[92:95], v[92:95], v[28:31], a[92:95], v141, v137 op_sel_hi:[0,0,0] cbsz:4 blgp:4// 000000004374: D3AC7800 0003138D D3AD8C5C 8572395C
	v_mfma_scale_f32_16x16x128_f8f6f4 a[80:83], v[96:99], v[32:35], a[80:83], v141, v137 op_sel_hi:[0,0,0] cbsz:4 blgp:4// 000000004384: D3AC6000 1803138D D3AD8C50 85424160
	buffer_load_dword v140, v158, s[24:27], 0 offen            // 000000004394: E0501000 80068C9E
	v_mfma_scale_f32_16x16x128_f8f6f4 a[84:87], v[96:99], v[36:39], a[84:87], v141, v137 op_sel_hi:[0,0,0] cbsz:4 blgp:4// 00000000439C: D3AC7000 1803138D D3AD8C54 85524960
	v_mfma_scale_f32_16x16x128_f8f6f4 a[88:91], v[100:103], v[32:35], a[88:91], v141, v137 op_sel_hi:[0,0,0] cbsz:4 blgp:4// 0000000043AC: D3AC6800 1803138D D3AD8C58 85624164
	v_mfma_scale_f32_16x16x128_f8f6f4 a[92:95], v[100:103], v[36:39], a[92:95], v141, v137 op_sel_hi:[0,0,0] cbsz:4 blgp:4// 0000000043BC: D3AC7800 1803138D D3AD8C5C 85724964
	s_waitcnt vmcnt(13)                                        // 0000000043CC: BF8C0F7D
	v_mfma_scale_f32_16x16x128_f8f6f4 a[32:35], v[104:107], v[8:11], a[32:35], v142, v136 op_sel_hi:[0,0,0] cbsz:4 blgp:4// 0000000043D0: D3AC6000 0003118E D3AD8C20 84821168
	buffer_load_dwordx4 v[88:91], v152, s[16:19], 0 offen      // 0000000043E0: E05C1000 80045898
	v_mfma_scale_f32_16x16x128_f8f6f4 a[36:39], v[104:107], v[12:15], a[36:39], v142, v136 op_sel_hi:[0,0,0] cbsz:4 blgp:4// 0000000043E8: D3AC7000 0003118E D3AD8C24 84921968
	v_mfma_scale_f32_16x16x128_f8f6f4 a[40:43], v[108:111], v[8:11], a[40:43], v142, v136 op_sel_hi:[0,0,0] cbsz:4 blgp:4// 0000000043F8: D3AC6800 0003118E D3AD8C28 84A2116C
	buffer_load_dwordx4 v[92:95], v153, s[16:19], 0 offen      // 000000004408: E05C1000 80045C99
	v_mfma_scale_f32_16x16x128_f8f6f4 a[44:47], v[108:111], v[12:15], a[44:47], v142, v136 op_sel_hi:[0,0,0] cbsz:4 blgp:4// 000000004410: D3AC7800 0003118E D3AD8C2C 84B2196C
	v_mfma_scale_f32_16x16x128_f8f6f4 a[32:35], v[112:115], v[16:19], a[32:35], v142, v136 op_sel_hi:[0,0,0] cbsz:4 blgp:4// 000000004420: D3AC6000 1803118E D3AD8C20 84822170
	buffer_load_dwordx4 v[96:99], v152, s[16:19], 0 offen offset:1024// 000000004430: E05C1400 80046098
	v_mfma_scale_f32_16x16x128_f8f6f4 a[36:39], v[112:115], v[20:23], a[36:39], v142, v136 op_sel_hi:[0,0,0] cbsz:4 blgp:4// 000000004438: D3AC7000 1803118E D3AD8C24 84922970
	v_mfma_scale_f32_16x16x128_f8f6f4 a[40:43], v[116:119], v[16:19], a[40:43], v142, v136 op_sel_hi:[0,0,0] cbsz:4 blgp:4// 000000004448: D3AC6800 1803118E D3AD8C28 84A22174
	buffer_load_dwordx4 v[100:103], v153, s[16:19], 0 offen offset:1024// 000000004458: E05C1400 80046499
	v_mfma_scale_f32_16x16x128_f8f6f4 a[44:47], v[116:119], v[20:23], a[44:47], v142, v136 op_sel_hi:[0,0,0] cbsz:4 blgp:4// 000000004460: D3AC7800 1803118E D3AD8C2C 84B22974
	v_mfma_scale_f32_16x16x128_f8f6f4 a[96:99], v[104:107], v[24:27], a[96:99], v142, v137 op_sel_hi:[0,0,0] cbsz:4 blgp:4// 000000004470: D3AC6000 0003138E D3AD8C60 85823168
	buffer_load_dword v141, v159, s[24:27], 0 offen            // 000000004480: E0501000 80068D9F
	v_mfma_scale_f32_16x16x128_f8f6f4 a[100:103], v[104:107], v[28:31], a[100:103], v142, v137 op_sel_hi:[0,0,0] cbsz:4 blgp:4// 000000004488: D3AC7000 0003138E D3AD8C64 85923968
	v_mfma_scale_f32_16x16x128_f8f6f4 a[104:107], v[108:111], v[24:27], a[104:107], v142, v137 op_sel_hi:[0,0,0] cbsz:4 blgp:4// 000000004498: D3AC6800 0003138E D3AD8C68 85A2316C
	v_mfma_scale_f32_16x16x128_f8f6f4 a[108:111], v[108:111], v[28:31], a[108:111], v142, v137 op_sel_hi:[0,0,0] cbsz:4 blgp:4// 0000000044A8: D3AC7800 0003138E D3AD8C6C 85B2396C
	v_mfma_scale_f32_16x16x128_f8f6f4 a[96:99], v[112:115], v[32:35], a[96:99], v142, v137 op_sel_hi:[0,0,0] cbsz:4 blgp:4// 0000000044B8: D3AC6000 1803138E D3AD8C60 85824170
	v_mfma_scale_f32_16x16x128_f8f6f4 a[100:103], v[112:115], v[36:39], a[100:103], v142, v137 op_sel_hi:[0,0,0] cbsz:4 blgp:4// 0000000044C8: D3AC7000 1803138E D3AD8C64 85924970
	v_mfma_scale_f32_16x16x128_f8f6f4 a[104:107], v[116:119], v[32:35], a[104:107], v142, v137 op_sel_hi:[0,0,0] cbsz:4 blgp:4// 0000000044D8: D3AC6800 1803138E D3AD8C68 85A24174
	v_mfma_scale_f32_16x16x128_f8f6f4 a[108:111], v[116:119], v[36:39], a[108:111], v142, v137 op_sel_hi:[0,0,0] cbsz:4 blgp:4// 0000000044E8: D3AC7800 1803138E D3AD8C6C 85B24974
	s_waitcnt vmcnt(10)                                        // 0000000044F8: BF8C0F7A
	s_barrier                                                  // 0000000044FC: BF8A0000
	v_mfma_scale_f32_16x16x128_f8f6f4 a[48:51], v[120:123], v[8:11], a[48:51], v143, v136 op_sel_hi:[0,0,0] cbsz:4 blgp:4// 000000004500: D3AC6000 0003118F D3AD8C30 84C21178
	s_addk_i32 s60, 0x100                                      // 000000004510: B73C0100
	buffer_load_dwordx4 v[104:107], v154, s[16:19], 0 offen    // 000000004514: E05C1000 8004689A
	v_mfma_scale_f32_16x16x128_f8f6f4 a[52:55], v[120:123], v[12:15], a[52:55], v143, v136 op_sel_hi:[0,0,0] cbsz:4 blgp:4// 00000000451C: D3AC7000 0003118F D3AD8C34 84D21978
	s_cmp_lt_i32 s60, s61                                      // 00000000452C: BF043D3C
	ds_read_b128 v[40:43], v147                                // 000000004530: D9FE0000 28000093
	v_mfma_scale_f32_16x16x128_f8f6f4 a[56:59], v[124:127], v[8:11], a[56:59], v143, v136 op_sel_hi:[0,0,0] cbsz:4 blgp:4// 000000004538: D3AC6800 0003118F D3AD8C38 84E2117C
	buffer_load_dwordx4 v[108:111], v155, s[16:19], 0 offen    // 000000004548: E05C1000 80046C9B
	v_mfma_scale_f32_16x16x128_f8f6f4 a[60:63], v[124:127], v[12:15], a[60:63], v143, v136 op_sel_hi:[0,0,0] cbsz:4 blgp:4// 000000004550: D3AC7800 0003118F D3AD8C3C 84F2197C
	ds_read_b128 v[48:51], v147 offset:64                      // 000000004560: D9FE0040 30000093
	v_mfma_scale_f32_16x16x128_f8f6f4 a[48:51], v[128:131], v[16:19], a[48:51], v143, v136 op_sel_hi:[0,0,0] cbsz:4 blgp:4// 000000004568: D3AC6000 1803118F D3AD8C30 84C22180
	buffer_load_dwordx4 v[112:115], v154, s[16:19], 0 offen offset:1024// 000000004578: E05C1400 8004709A
	v_mfma_scale_f32_16x16x128_f8f6f4 a[52:55], v[128:131], v[20:23], a[52:55], v143, v136 op_sel_hi:[0,0,0] cbsz:4 blgp:4// 000000004580: D3AC7000 1803118F D3AD8C34 84D22980
	ds_read_b128 v[44:47], v147 offset:512                     // 000000004590: D9FE0200 2C000093
	v_mfma_scale_f32_16x16x128_f8f6f4 a[56:59], v[132:135], v[16:19], a[56:59], v143, v136 op_sel_hi:[0,0,0] cbsz:4 blgp:4// 000000004598: D3AC6800 1803118F D3AD8C38 84E22184
	buffer_load_dwordx4 v[116:119], v155, s[16:19], 0 offen offset:1024// 0000000045A8: E05C1400 8004749B
	v_mfma_scale_f32_16x16x128_f8f6f4 a[60:63], v[132:135], v[20:23], a[60:63], v143, v136 op_sel_hi:[0,0,0] cbsz:4 blgp:4// 0000000045B0: D3AC7800 1803118F D3AD8C3C 84F22984
	ds_read_b128 v[52:55], v147 offset:576                     // 0000000045C0: D9FE0240 34000093
	ds_read_b32 v138, v149 offset:1024                         // 0000000045C8: D86C0400 8A000095
	v_mfma_scale_f32_16x16x128_f8f6f4 a[112:115], v[120:123], v[24:27], a[112:115], v143, v137 op_sel_hi:[0,0,0] cbsz:4 blgp:4// 0000000045D0: D3AC6000 0003138F D3AD8C70 85C23178
	buffer_load_dword v142, v160, s[24:27], 0 offen            // 0000000045E0: E0501000 80068EA0
	v_mfma_scale_f32_16x16x128_f8f6f4 a[116:119], v[120:123], v[28:31], a[116:119], v143, v137 op_sel_hi:[0,0,0] cbsz:4 blgp:4// 0000000045E8: D3AC7000 0003138F D3AD8C74 85D23978
	ds_read_b128 v[56:59], v147 offset:4224                    // 0000000045F8: D9FE1080 38000093
	v_mfma_scale_f32_16x16x128_f8f6f4 a[120:123], v[124:127], v[24:27], a[120:123], v143, v137 op_sel_hi:[0,0,0] cbsz:4 blgp:4// 000000004600: D3AC6800 0003138F D3AD8C78 85E2317C
	v_mfma_scale_f32_16x16x128_f8f6f4 a[124:127], v[124:127], v[28:31], a[124:127], v143, v137 op_sel_hi:[0,0,0] cbsz:4 blgp:4// 000000004610: D3AC7800 0003138F D3AD8C7C 85F2397C
	ds_read_b128 v[64:67], v147 offset:4288                    // 000000004620: D9FE10C0 40000093
	v_mfma_scale_f32_16x16x128_f8f6f4 a[112:115], v[128:131], v[32:35], a[112:115], v143, v137 op_sel_hi:[0,0,0] cbsz:4 blgp:4// 000000004628: D3AC6000 1803138F D3AD8C70 85C24180
	v_mfma_scale_f32_16x16x128_f8f6f4 a[116:119], v[128:131], v[36:39], a[116:119], v143, v137 op_sel_hi:[0,0,0] cbsz:4 blgp:4// 000000004638: D3AC7000 1803138F D3AD8C74 85D24980
	ds_read_b128 v[60:63], v147 offset:4736                    // 000000004648: D9FE1280 3C000093
	v_mfma_scale_f32_16x16x128_f8f6f4 a[120:123], v[132:135], v[32:35], a[120:123], v143, v137 op_sel_hi:[0,0,0] cbsz:4 blgp:4// 000000004650: D3AC6800 1803138F D3AD8C78 85E24184
	v_mfma_scale_f32_16x16x128_f8f6f4 a[124:127], v[132:135], v[36:39], a[124:127], v143, v137 op_sel_hi:[0,0,0] cbsz:4 blgp:4// 000000004660: D3AC7800 1803138F D3AD8C7C 85F24984
	ds_read_b128 v[68:71], v147 offset:4800                    // 000000004670: D9FE12C0 44000093
	ds_read_b32 v139, v149 offset:1280                         // 000000004678: D86C0500 8B000095
	s_cbranch_scc0 label_0807                                  // 000000004680: BF840166
	s_waitcnt vmcnt(10) lgkmcnt(5)                             // 000000004684: BF8C057A
	v_mfma_scale_f32_16x16x128_f8f6f4 a[0:3], v[72:75], v[40:43], a[0:3], v140, v138 op_sel_hi:[0,0,0] cbsz:4 blgp:4// 000000004688: D3AC6000 0003158C D3AD8C00 84025148
	s_add_u32 s63, 0x100, s60                                  // 000000004698: 803F3CFF 00000100
	buffer_load_dwordx4 v[120:123], v156, s[16:19], 0 offen    // 0000000046A0: E05C1000 8004789C
	v_mfma_scale_f32_16x16x128_f8f6f4 a[4:7], v[72:75], v[44:47], a[4:7], v140, v138 op_sel_hi:[0,0,0] cbsz:4 blgp:4// 0000000046A8: D3AC7000 0003158C D3AD8C04 84125948
	s_cmp_lt_u32 s63, s61                                      // 0000000046B8: BF0A3D3F
	s_cselect_b32 s67, s67, 0                                  // 0000000046BC: 85438043
	v_mfma_scale_f32_16x16x128_f8f6f4 a[8:11], v[76:79], v[40:43], a[8:11], v140, v138 op_sel_hi:[0,0,0] cbsz:4 blgp:4// 0000000046C0: D3AC6800 0003158C D3AD8C08 8422514C
	s_cselect_b32 s69, s69, 0                                  // 0000000046D0: 85458045
	buffer_load_dwordx4 v[124:127], v157, s[16:19], 0 offen    // 0000000046D4: E05C1000 80047C9D
	v_mfma_scale_f32_16x16x128_f8f6f4 a[12:15], v[76:79], v[44:47], a[12:15], v140, v138 op_sel_hi:[0,0,0] cbsz:4 blgp:4// 0000000046DC: D3AC7800 0003158C D3AD8C0C 8432594C
	v_mfma_scale_f32_16x16x128_f8f6f4 a[0:3], v[80:83], v[48:51], a[0:3], v140, v138 op_sel_hi:[0,0,0] cbsz:4 blgp:4// 0000000046EC: D3AC6000 1803158C D3AD8C00 84026150
	buffer_load_dwordx4 v[128:131], v156, s[16:19], 0 offen offset:1024// 0000000046FC: E05C1400 8004809C
	v_mfma_scale_f32_16x16x128_f8f6f4 a[4:7], v[80:83], v[52:55], a[4:7], v140, v138 op_sel_hi:[0,0,0] cbsz:4 blgp:4// 000000004704: D3AC7000 1803158C D3AD8C04 84126950
	v_mfma_scale_f32_16x16x128_f8f6f4 a[8:11], v[84:87], v[48:51], a[8:11], v140, v138 op_sel_hi:[0,0,0] cbsz:4 blgp:4// 000000004714: D3AC6800 1803158C D3AD8C08 84226154
	buffer_load_dwordx4 v[132:135], v157, s[16:19], 0 offen offset:1024// 000000004724: E05C1400 8004849D
	v_mfma_scale_f32_16x16x128_f8f6f4 a[12:15], v[84:87], v[52:55], a[12:15], v140, v138 op_sel_hi:[0,0,0] cbsz:4 blgp:4// 00000000472C: D3AC7800 1803158C D3AD8C0C 84326954
	s_waitcnt lgkmcnt(0)                                       // 00000000473C: BF8CC07F
	v_mfma_scale_f32_16x16x128_f8f6f4 a[64:67], v[72:75], v[56:59], a[64:67], v140, v139 op_sel_hi:[0,0,0] cbsz:4 blgp:4// 000000004740: D3AC6000 0003178C D3AD8C40 85027148
	buffer_load_dword v143, v161, s[24:27], 0 offen            // 000000004750: E0501000 80068FA1
	v_mfma_scale_f32_16x16x128_f8f6f4 a[68:71], v[72:75], v[60:63], a[68:71], v140, v139 op_sel_hi:[0,0,0] cbsz:4 blgp:4// 000000004758: D3AC7000 0003178C D3AD8C44 85127948
	s_add_u32 s16, s16, s67                                    // 000000004768: 80104310
	s_addc_u32 s17, 0, s17                                     // 00000000476C: 82111180
	v_mfma_scale_f32_16x16x128_f8f6f4 a[72:75], v[76:79], v[56:59], a[72:75], v140, v139 op_sel_hi:[0,0,0] cbsz:4 blgp:4// 000000004770: D3AC6800 0003178C D3AD8C48 8522714C
	s_sub_u32 s18, s18, s67                                    // 000000004780: 80924312
	s_add_u32 s24, s24, s69                                    // 000000004784: 80184518
	v_mfma_scale_f32_16x16x128_f8f6f4 a[76:79], v[76:79], v[60:63], a[76:79], v140, v139 op_sel_hi:[0,0,0] cbsz:4 blgp:4// 000000004788: D3AC7800 0003178C D3AD8C4C 8532794C
	s_addc_u32 s25, 0, s25                                     // 000000004798: 82191980
	s_sub_u32 s26, s26, s69                                    // 00000000479C: 809A451A
	v_mfma_scale_f32_16x16x128_f8f6f4 a[64:67], v[80:83], v[64:67], a[64:67], v140, v139 op_sel_hi:[0,0,0] cbsz:4 blgp:4// 0000000047A0: D3AC6000 1803178C D3AD8C40 85028150
	s_add_u32 m0, 0, s65                                       // 0000000047B0: 807C4180
	buffer_load_dword v148, s[20:23], 0 offen lds              // 0000000047B4: E0511000 80050094
	v_mfma_scale_f32_16x16x128_f8f6f4 a[68:71], v[80:83], v[68:71], a[68:71], v140, v139 op_sel_hi:[0,0,0] cbsz:4 blgp:4// 0000000047BC: D3AC7000 1803178C D3AD8C44 85128950
	v_mfma_scale_f32_16x16x128_f8f6f4 a[72:75], v[84:87], v[64:67], a[72:75], v140, v139 op_sel_hi:[0,0,0] cbsz:4 blgp:4// 0000000047CC: D3AC6800 1803178C D3AD8C48 85228154
	v_mfma_scale_f32_16x16x128_f8f6f4 a[76:79], v[84:87], v[68:71], a[76:79], v140, v139 op_sel_hi:[0,0,0] cbsz:4 blgp:4// 0000000047DC: D3AC7800 1803178C D3AD8C4C 85328954
	s_waitcnt vmcnt(11)                                        // 0000000047EC: BF8C0F7B
	v_mfma_scale_f32_16x16x128_f8f6f4 a[16:19], v[88:91], v[40:43], a[16:19], v141, v138 op_sel_hi:[0,0,0] cbsz:4 blgp:4// 0000000047F0: D3AC6000 0003158D D3AD8C10 84425158
	s_add_u32 m0, 0, s64                                       // 000000004800: 807C4080
	buffer_load_dwordx4 v144, s[12:15], 0 offen lds            // 000000004804: E05D1000 80030090
	v_mfma_scale_f32_16x16x128_f8f6f4 a[20:23], v[88:91], v[44:47], a[20:23], v141, v138 op_sel_hi:[0,0,0] cbsz:4 blgp:4// 00000000480C: D3AC7000 0003158D D3AD8C14 84525958
	v_mfma_scale_f32_16x16x128_f8f6f4 a[24:27], v[92:95], v[40:43], a[24:27], v141, v138 op_sel_hi:[0,0,0] cbsz:4 blgp:4// 00000000481C: D3AC6800 0003158D D3AD8C18 8462515C
	s_add_u32 m0, 0x1080, s64                                  // 00000000482C: 807C40FF 00001080
	buffer_load_dwordx4 v145, s[12:15], 0 offen lds            // 000000004834: E05D1000 80030091
	v_mfma_scale_f32_16x16x128_f8f6f4 a[28:31], v[92:95], v[44:47], a[28:31], v141, v138 op_sel_hi:[0,0,0] cbsz:4 blgp:4// 00000000483C: D3AC7800 0003158D D3AD8C1C 8472595C
	s_add_u32 s62, 0x200, s60                                  // 00000000484C: 803E3CFF 00000200
	s_cmp_lt_u32 s62, s61                                      // 000000004854: BF0A3D3E
	v_mfma_scale_f32_16x16x128_f8f6f4 a[16:19], v[96:99], v[48:51], a[16:19], v141, v138 op_sel_hi:[0,0,0] cbsz:4 blgp:4// 000000004858: D3AC6000 1803158D D3AD8C10 84426160
	s_cselect_b32 s66, s66, 0                                  // 000000004868: 85428042
	buffer_load_dwordx4 v[72:75], v150, s[16:19], 0 offen      // 00000000486C: E05C1000 80044896
	v_mfma_scale_f32_16x16x128_f8f6f4 a[20:23], v[96:99], v[52:55], a[20:23], v141, v138 op_sel_hi:[0,0,0] cbsz:4 blgp:4// 000000004874: D3AC7000 1803158D D3AD8C14 84526960
	s_cselect_b32 s68, s68, 0                                  // 000000004884: 85448044
	s_add_u32 s12, s12, s66                                    // 000000004888: 800C420C
	v_mfma_scale_f32_16x16x128_f8f6f4 a[24:27], v[100:103], v[48:51], a[24:27], v141, v138 op_sel_hi:[0,0,0] cbsz:4 blgp:4// 00000000488C: D3AC6800 1803158D D3AD8C18 84626164
	s_addc_u32 s13, 0, s13                                     // 00000000489C: 820D0D80
	buffer_load_dwordx4 v[76:79], v151, s[16:19], 0 offen      // 0000000048A0: E05C1000 80044C97
	v_mfma_scale_f32_16x16x128_f8f6f4 a[28:31], v[100:103], v[52:55], a[28:31], v141, v138 op_sel_hi:[0,0,0] cbsz:4 blgp:4// 0000000048A8: D3AC7800 1803158D D3AD8C1C 84726964
	s_sub_u32 s14, s14, s66                                    // 0000000048B8: 808E420E
	s_add_u32 s20, s20, s68                                    // 0000000048BC: 80144414
	v_mfma_scale_f32_16x16x128_f8f6f4 a[80:83], v[88:91], v[56:59], a[80:83], v141, v139 op_sel_hi:[0,0,0] cbsz:4 blgp:4// 0000000048C0: D3AC6000 0003178D D3AD8C50 85427158
	s_addc_u32 s21, 0, s21                                     // 0000000048D0: 82151580
	buffer_load_dwordx4 v[80:83], v150, s[16:19], 0 offen offset:1024// 0000000048D4: E05C1400 80045096
	v_mfma_scale_f32_16x16x128_f8f6f4 a[84:87], v[88:91], v[60:63], a[84:87], v141, v139 op_sel_hi:[0,0,0] cbsz:4 blgp:4// 0000000048DC: D3AC7000 0003178D D3AD8C54 85527958
	s_sub_u32 s22, s22, s68                                    // 0000000048EC: 80964416
	v_mfma_scale_f32_16x16x128_f8f6f4 a[88:91], v[92:95], v[56:59], a[88:91], v141, v139 op_sel_hi:[0,0,0] cbsz:4 blgp:4// 0000000048F0: D3AC6800 0003178D D3AD8C58 8562715C
	buffer_load_dwordx4 v[84:87], v151, s[16:19], 0 offen offset:1024// 000000004900: E05C1400 80045497
	v_mfma_scale_f32_16x16x128_f8f6f4 a[92:95], v[92:95], v[60:63], a[92:95], v141, v139 op_sel_hi:[0,0,0] cbsz:4 blgp:4// 000000004908: D3AC7800 0003178D D3AD8C5C 8572795C
	v_mfma_scale_f32_16x16x128_f8f6f4 a[80:83], v[96:99], v[64:67], a[80:83], v141, v139 op_sel_hi:[0,0,0] cbsz:4 blgp:4// 000000004918: D3AC6000 1803178D D3AD8C50 85428160
	buffer_load_dword v140, v158, s[24:27], 0 offen            // 000000004928: E0501000 80068C9E
	v_mfma_scale_f32_16x16x128_f8f6f4 a[84:87], v[96:99], v[68:71], a[84:87], v141, v139 op_sel_hi:[0,0,0] cbsz:4 blgp:4// 000000004930: D3AC7000 1803178D D3AD8C54 85528960
	v_mfma_scale_f32_16x16x128_f8f6f4 a[88:91], v[100:103], v[64:67], a[88:91], v141, v139 op_sel_hi:[0,0,0] cbsz:4 blgp:4// 000000004940: D3AC6800 1803178D D3AD8C58 85628164
	v_mfma_scale_f32_16x16x128_f8f6f4 a[92:95], v[100:103], v[68:71], a[92:95], v141, v139 op_sel_hi:[0,0,0] cbsz:4 blgp:4// 000000004950: D3AC7800 1803178D D3AD8C5C 85728964
	s_waitcnt vmcnt(13)                                        // 000000004960: BF8C0F7D
	v_mfma_scale_f32_16x16x128_f8f6f4 a[32:35], v[104:107], v[40:43], a[32:35], v142, v138 op_sel_hi:[0,0,0] cbsz:4 blgp:4// 000000004964: D3AC6000 0003158E D3AD8C20 84825168
	buffer_load_dwordx4 v[88:91], v152, s[16:19], 0 offen      // 000000004974: E05C1000 80045898
	v_mfma_scale_f32_16x16x128_f8f6f4 a[36:39], v[104:107], v[44:47], a[36:39], v142, v138 op_sel_hi:[0,0,0] cbsz:4 blgp:4// 00000000497C: D3AC7000 0003158E D3AD8C24 84925968
	v_mfma_scale_f32_16x16x128_f8f6f4 a[40:43], v[108:111], v[40:43], a[40:43], v142, v138 op_sel_hi:[0,0,0] cbsz:4 blgp:4// 00000000498C: D3AC6800 0003158E D3AD8C28 84A2516C
	buffer_load_dwordx4 v[92:95], v153, s[16:19], 0 offen      // 00000000499C: E05C1000 80045C99
	v_mfma_scale_f32_16x16x128_f8f6f4 a[44:47], v[108:111], v[44:47], a[44:47], v142, v138 op_sel_hi:[0,0,0] cbsz:4 blgp:4// 0000000049A4: D3AC7800 0003158E D3AD8C2C 84B2596C
	v_mfma_scale_f32_16x16x128_f8f6f4 a[32:35], v[112:115], v[48:51], a[32:35], v142, v138 op_sel_hi:[0,0,0] cbsz:4 blgp:4// 0000000049B4: D3AC6000 1803158E D3AD8C20 84826170
	buffer_load_dwordx4 v[96:99], v152, s[16:19], 0 offen offset:1024// 0000000049C4: E05C1400 80046098
	v_mfma_scale_f32_16x16x128_f8f6f4 a[36:39], v[112:115], v[52:55], a[36:39], v142, v138 op_sel_hi:[0,0,0] cbsz:4 blgp:4// 0000000049CC: D3AC7000 1803158E D3AD8C24 84926970
	v_mfma_scale_f32_16x16x128_f8f6f4 a[40:43], v[116:119], v[48:51], a[40:43], v142, v138 op_sel_hi:[0,0,0] cbsz:4 blgp:4// 0000000049DC: D3AC6800 1803158E D3AD8C28 84A26174
	buffer_load_dwordx4 v[100:103], v153, s[16:19], 0 offen offset:1024// 0000000049EC: E05C1400 80046499
	v_mfma_scale_f32_16x16x128_f8f6f4 a[44:47], v[116:119], v[52:55], a[44:47], v142, v138 op_sel_hi:[0,0,0] cbsz:4 blgp:4// 0000000049F4: D3AC7800 1803158E D3AD8C2C 84B26974
	v_mfma_scale_f32_16x16x128_f8f6f4 a[96:99], v[104:107], v[56:59], a[96:99], v142, v139 op_sel_hi:[0,0,0] cbsz:4 blgp:4// 000000004A04: D3AC6000 0003178E D3AD8C60 85827168
	buffer_load_dword v141, v159, s[24:27], 0 offen            // 000000004A14: E0501000 80068D9F
	v_mfma_scale_f32_16x16x128_f8f6f4 a[100:103], v[104:107], v[60:63], a[100:103], v142, v139 op_sel_hi:[0,0,0] cbsz:4 blgp:4// 000000004A1C: D3AC7000 0003178E D3AD8C64 85927968
	v_mfma_scale_f32_16x16x128_f8f6f4 a[104:107], v[108:111], v[56:59], a[104:107], v142, v139 op_sel_hi:[0,0,0] cbsz:4 blgp:4// 000000004A2C: D3AC6800 0003178E D3AD8C68 85A2716C
	v_mfma_scale_f32_16x16x128_f8f6f4 a[108:111], v[108:111], v[60:63], a[108:111], v142, v139 op_sel_hi:[0,0,0] cbsz:4 blgp:4// 000000004A3C: D3AC7800 0003178E D3AD8C6C 85B2796C
	v_mfma_scale_f32_16x16x128_f8f6f4 a[96:99], v[112:115], v[64:67], a[96:99], v142, v139 op_sel_hi:[0,0,0] cbsz:4 blgp:4// 000000004A4C: D3AC6000 1803178E D3AD8C60 85828170
	v_mfma_scale_f32_16x16x128_f8f6f4 a[100:103], v[112:115], v[68:71], a[100:103], v142, v139 op_sel_hi:[0,0,0] cbsz:4 blgp:4// 000000004A5C: D3AC7000 1803178E D3AD8C64 85928970
	v_mfma_scale_f32_16x16x128_f8f6f4 a[104:107], v[116:119], v[64:67], a[104:107], v142, v139 op_sel_hi:[0,0,0] cbsz:4 blgp:4// 000000004A6C: D3AC6800 1803178E D3AD8C68 85A28174
	v_mfma_scale_f32_16x16x128_f8f6f4 a[108:111], v[116:119], v[68:71], a[108:111], v142, v139 op_sel_hi:[0,0,0] cbsz:4 blgp:4// 000000004A7C: D3AC7800 1803178E D3AD8C6C 85B28974
	s_waitcnt vmcnt(10)                                        // 000000004A8C: BF8C0F7A
	s_barrier                                                  // 000000004A90: BF8A0000
	v_mfma_scale_f32_16x16x128_f8f6f4 a[48:51], v[120:123], v[40:43], a[48:51], v143, v138 op_sel_hi:[0,0,0] cbsz:4 blgp:4// 000000004A94: D3AC6000 0003158F D3AD8C30 84C25178
	s_addk_i32 s60, 0x100                                      // 000000004AA4: B73C0100
	buffer_load_dwordx4 v[104:107], v154, s[16:19], 0 offen    // 000000004AA8: E05C1000 8004689A
	v_mfma_scale_f32_16x16x128_f8f6f4 a[52:55], v[120:123], v[44:47], a[52:55], v143, v138 op_sel_hi:[0,0,0] cbsz:4 blgp:4// 000000004AB0: D3AC7000 0003158F D3AD8C34 84D25978
	s_cmp_lt_i32 s60, s61                                      // 000000004AC0: BF043D3C
	ds_read_b128 v[8:11], v146                                 // 000000004AC4: D9FE0000 08000092
	v_mfma_scale_f32_16x16x128_f8f6f4 a[56:59], v[124:127], v[40:43], a[56:59], v143, v138 op_sel_hi:[0,0,0] cbsz:4 blgp:4// 000000004ACC: D3AC6800 0003158F D3AD8C38 84E2517C
	buffer_load_dwordx4 v[108:111], v155, s[16:19], 0 offen    // 000000004ADC: E05C1000 80046C9B
	v_mfma_scale_f32_16x16x128_f8f6f4 a[60:63], v[124:127], v[44:47], a[60:63], v143, v138 op_sel_hi:[0,0,0] cbsz:4 blgp:4// 000000004AE4: D3AC7800 0003158F D3AD8C3C 84F2597C
	ds_read_b128 v[16:19], v146 offset:64                      // 000000004AF4: D9FE0040 10000092
	v_mfma_scale_f32_16x16x128_f8f6f4 a[48:51], v[128:131], v[48:51], a[48:51], v143, v138 op_sel_hi:[0,0,0] cbsz:4 blgp:4// 000000004AFC: D3AC6000 1803158F D3AD8C30 84C26180
	buffer_load_dwordx4 v[112:115], v154, s[16:19], 0 offen offset:1024// 000000004B0C: E05C1400 8004709A
	v_mfma_scale_f32_16x16x128_f8f6f4 a[52:55], v[128:131], v[52:55], a[52:55], v143, v138 op_sel_hi:[0,0,0] cbsz:4 blgp:4// 000000004B14: D3AC7000 1803158F D3AD8C34 84D26980
	ds_read_b128 v[12:15], v146 offset:512                     // 000000004B24: D9FE0200 0C000092
	v_mfma_scale_f32_16x16x128_f8f6f4 a[56:59], v[132:135], v[48:51], a[56:59], v143, v138 op_sel_hi:[0,0,0] cbsz:4 blgp:4// 000000004B2C: D3AC6800 1803158F D3AD8C38 84E26184
	buffer_load_dwordx4 v[116:119], v155, s[16:19], 0 offen offset:1024// 000000004B3C: E05C1400 8004749B
	v_mfma_scale_f32_16x16x128_f8f6f4 a[60:63], v[132:135], v[52:55], a[60:63], v143, v138 op_sel_hi:[0,0,0] cbsz:4 blgp:4// 000000004B44: D3AC7800 1803158F D3AD8C3C 84F26984
	ds_read_b128 v[20:23], v146 offset:576                     // 000000004B54: D9FE0240 14000092
	ds_read_b32 v136, v149                                     // 000000004B5C: D86C0000 88000095
	v_mfma_scale_f32_16x16x128_f8f6f4 a[112:115], v[120:123], v[56:59], a[112:115], v143, v139 op_sel_hi:[0,0,0] cbsz:4 blgp:4// 000000004B64: D3AC6000 0003178F D3AD8C70 85C27178
	buffer_load_dword v142, v160, s[24:27], 0 offen            // 000000004B74: E0501000 80068EA0
	v_mfma_scale_f32_16x16x128_f8f6f4 a[116:119], v[120:123], v[60:63], a[116:119], v143, v139 op_sel_hi:[0,0,0] cbsz:4 blgp:4// 000000004B7C: D3AC7000 0003178F D3AD8C74 85D27978
	ds_read_b128 v[24:27], v146 offset:4224                    // 000000004B8C: D9FE1080 18000092
	v_mfma_scale_f32_16x16x128_f8f6f4 a[120:123], v[124:127], v[56:59], a[120:123], v143, v139 op_sel_hi:[0,0,0] cbsz:4 blgp:4// 000000004B94: D3AC6800 0003178F D3AD8C78 85E2717C
	v_mfma_scale_f32_16x16x128_f8f6f4 a[124:127], v[124:127], v[60:63], a[124:127], v143, v139 op_sel_hi:[0,0,0] cbsz:4 blgp:4// 000000004BA4: D3AC7800 0003178F D3AD8C7C 85F2797C
	ds_read_b128 v[32:35], v146 offset:4288                    // 000000004BB4: D9FE10C0 20000092
	v_mfma_scale_f32_16x16x128_f8f6f4 a[112:115], v[128:131], v[64:67], a[112:115], v143, v139 op_sel_hi:[0,0,0] cbsz:4 blgp:4// 000000004BBC: D3AC6000 1803178F D3AD8C70 85C28180
	v_mfma_scale_f32_16x16x128_f8f6f4 a[116:119], v[128:131], v[68:71], a[116:119], v143, v139 op_sel_hi:[0,0,0] cbsz:4 blgp:4// 000000004BCC: D3AC7000 1803178F D3AD8C74 85D28980
	ds_read_b128 v[28:31], v146 offset:4736                    // 000000004BDC: D9FE1280 1C000092
	v_mfma_scale_f32_16x16x128_f8f6f4 a[120:123], v[132:135], v[64:67], a[120:123], v143, v139 op_sel_hi:[0,0,0] cbsz:4 blgp:4// 000000004BE4: D3AC6800 1803178F D3AD8C78 85E28184
	v_mfma_scale_f32_16x16x128_f8f6f4 a[124:127], v[132:135], v[68:71], a[124:127], v143, v139 op_sel_hi:[0,0,0] cbsz:4 blgp:4// 000000004BF4: D3AC7800 1803178F D3AD8C7C 85F28984
	ds_read_b128 v[36:39], v146 offset:4800                    // 000000004C04: D9FE12C0 24000092
	ds_read_b32 v137, v149 offset:256                          // 000000004C0C: D86C0100 89000095
	s_cbranch_scc0 label_0807                                  // 000000004C14: BF840001
	s_branch label_053A                                        // 000000004C18: BF82FD33

0000000000004c1c <label_0807>:
	s_waitcnt lgkmcnt(0)                                       // 000000004C1C: BF8CC07F
	s_mul_i32 s62, s47, 0x200                                  // 000000004C20: 923EFF2F 00000200
	s_mul_i32 s63, s46, 0x80                                   // 000000004C28: 923FFF2E 00000080
	s_add_u32 s60, s62, s63                                    // 000000004C30: 803C3F3E
	s_add_u32 s62, s60, 0x80                                   // 000000004C34: 803EFF3C 00000080
	s_cmp_lt_i32 s44, s62                                      // 000000004C3C: BF043E2C
	s_cbranch_scc1 label_0A19                                  // 000000004C40: BF850208
	s_mul_i32 s62, s36, 16                                     // 000000004C44: 923E9024
	v_add_u32_e32 v166, 0, v162                                // 000000004C48: 694D4480
	v_accvgpr_read_b32 v8, a0                                  // 000000004C4C: D3D84008 18000100
	v_accvgpr_read_b32 v9, a1                                  // 000000004C54: D3D84009 18000101
	v_accvgpr_read_b32 v10, a2                                 // 000000004C5C: D3D8400A 18000102
	v_accvgpr_read_b32 v11, a3                                 // 000000004C64: D3D8400B 18000103
	v_accvgpr_read_b32 v12, a8                                 // 000000004C6C: D3D8400C 18000108
	v_accvgpr_read_b32 v13, a9                                 // 000000004C74: D3D8400D 18000109
	v_accvgpr_read_b32 v14, a10                                // 000000004C7C: D3D8400E 1800010A
	v_accvgpr_read_b32 v15, a11                                // 000000004C84: D3D8400F 1800010B
	v_cvt_pk_bf16_f32 v16, v8, v9                              // 000000004C8C: D2680010 00021308
	v_cvt_pk_bf16_f32 v17, v10, v11                            // 000000004C94: D2680011 0002170A
	v_cvt_pk_bf16_f32 v18, v12, v13                            // 000000004C9C: D2680012 00021B0C
	v_cvt_pk_bf16_f32 v19, v14, v15                            // 000000004CA4: D2680013 00021F0E
	s_nop 1                                                    // 000000004CAC: BF800001
	v_permlane16_swap_b32_e32 v16, v18                         // 000000004CB0: 7E20B312
	s_nop 1                                                    // 000000004CB4: BF800001
	v_permlane16_swap_b32_e32 v17, v19                         // 000000004CB8: 7E22B313
	s_nop 1                                                    // 000000004CBC: BF800001
	buffer_store_dwordx4 v[16:19], v166, s[4:7], 0 offen       // 000000004CC0: E07C1000 800110A6
	v_add_u32_e32 v166, s62, v166                              // 000000004CC8: 694D4C3E
	v_accvgpr_read_b32 v8, a4                                  // 000000004CCC: D3D84008 18000104
	v_accvgpr_read_b32 v9, a5                                  // 000000004CD4: D3D84009 18000105
	v_accvgpr_read_b32 v10, a6                                 // 000000004CDC: D3D8400A 18000106
	v_accvgpr_read_b32 v11, a7                                 // 000000004CE4: D3D8400B 18000107
	v_accvgpr_read_b32 v12, a12                                // 000000004CEC: D3D8400C 1800010C
	v_accvgpr_read_b32 v13, a13                                // 000000004CF4: D3D8400D 1800010D
	v_accvgpr_read_b32 v14, a14                                // 000000004CFC: D3D8400E 1800010E
	v_accvgpr_read_b32 v15, a15                                // 000000004D04: D3D8400F 1800010F
	v_cvt_pk_bf16_f32 v16, v8, v9                              // 000000004D0C: D2680010 00021308
	v_cvt_pk_bf16_f32 v17, v10, v11                            // 000000004D14: D2680011 0002170A
	v_cvt_pk_bf16_f32 v18, v12, v13                            // 000000004D1C: D2680012 00021B0C
	v_cvt_pk_bf16_f32 v19, v14, v15                            // 000000004D24: D2680013 00021F0E
	s_nop 1                                                    // 000000004D2C: BF800001
	v_permlane16_swap_b32_e32 v16, v18                         // 000000004D30: 7E20B312
	s_nop 1                                                    // 000000004D34: BF800001
	v_permlane16_swap_b32_e32 v17, v19                         // 000000004D38: 7E22B313
	s_nop 1                                                    // 000000004D3C: BF800001
	buffer_store_dwordx4 v[16:19], v166, s[4:7], 0 offen       // 000000004D40: E07C1000 800110A6
	v_add_u32_e32 v166, s62, v166                              // 000000004D48: 694D4C3E
	v_accvgpr_read_b32 v8, a64                                 // 000000004D4C: D3D84008 18000140
	v_accvgpr_read_b32 v9, a65                                 // 000000004D54: D3D84009 18000141
	v_accvgpr_read_b32 v10, a66                                // 000000004D5C: D3D8400A 18000142
	v_accvgpr_read_b32 v11, a67                                // 000000004D64: D3D8400B 18000143
	v_accvgpr_read_b32 v12, a72                                // 000000004D6C: D3D8400C 18000148
	v_accvgpr_read_b32 v13, a73                                // 000000004D74: D3D8400D 18000149
	v_accvgpr_read_b32 v14, a74                                // 000000004D7C: D3D8400E 1800014A
	v_accvgpr_read_b32 v15, a75                                // 000000004D84: D3D8400F 1800014B
	v_cvt_pk_bf16_f32 v16, v8, v9                              // 000000004D8C: D2680010 00021308
	v_cvt_pk_bf16_f32 v17, v10, v11                            // 000000004D94: D2680011 0002170A
	v_cvt_pk_bf16_f32 v18, v12, v13                            // 000000004D9C: D2680012 00021B0C
	v_cvt_pk_bf16_f32 v19, v14, v15                            // 000000004DA4: D2680013 00021F0E
	s_nop 1                                                    // 000000004DAC: BF800001
	v_permlane16_swap_b32_e32 v16, v18                         // 000000004DB0: 7E20B312
	s_nop 1                                                    // 000000004DB4: BF800001
	v_permlane16_swap_b32_e32 v17, v19                         // 000000004DB8: 7E22B313
	s_nop 1                                                    // 000000004DBC: BF800001
	buffer_store_dwordx4 v[16:19], v166, s[4:7], 0 offen       // 000000004DC0: E07C1000 800110A6
	v_add_u32_e32 v166, s62, v166                              // 000000004DC8: 694D4C3E
	v_accvgpr_read_b32 v8, a68                                 // 000000004DCC: D3D84008 18000144
	v_accvgpr_read_b32 v9, a69                                 // 000000004DD4: D3D84009 18000145
	v_accvgpr_read_b32 v10, a70                                // 000000004DDC: D3D8400A 18000146
	v_accvgpr_read_b32 v11, a71                                // 000000004DE4: D3D8400B 18000147
	v_accvgpr_read_b32 v12, a76                                // 000000004DEC: D3D8400C 1800014C
	v_accvgpr_read_b32 v13, a77                                // 000000004DF4: D3D8400D 1800014D
	v_accvgpr_read_b32 v14, a78                                // 000000004DFC: D3D8400E 1800014E
	v_accvgpr_read_b32 v15, a79                                // 000000004E04: D3D8400F 1800014F
	v_cvt_pk_bf16_f32 v16, v8, v9                              // 000000004E0C: D2680010 00021308
	v_cvt_pk_bf16_f32 v17, v10, v11                            // 000000004E14: D2680011 0002170A
	v_cvt_pk_bf16_f32 v18, v12, v13                            // 000000004E1C: D2680012 00021B0C
	v_cvt_pk_bf16_f32 v19, v14, v15                            // 000000004E24: D2680013 00021F0E
	s_nop 1                                                    // 000000004E2C: BF800001
	v_permlane16_swap_b32_e32 v16, v18                         // 000000004E30: 7E20B312
	s_nop 1                                                    // 000000004E34: BF800001
	v_permlane16_swap_b32_e32 v17, v19                         // 000000004E38: 7E22B313
	s_nop 1                                                    // 000000004E3C: BF800001
	buffer_store_dwordx4 v[16:19], v166, s[4:7], 0 offen       // 000000004E40: E07C1000 800110A6
	v_add_u32_e32 v166, s62, v166                              // 000000004E48: 694D4C3E
	v_add_u32_e32 v166, 64, v162                               // 000000004E4C: 694D44C0
	v_accvgpr_read_b32 v8, a16                                 // 000000004E50: D3D84008 18000110
	v_accvgpr_read_b32 v9, a17                                 // 000000004E58: D3D84009 18000111
	v_accvgpr_read_b32 v10, a18                                // 000000004E60: D3D8400A 18000112
	v_accvgpr_read_b32 v11, a19                                // 000000004E68: D3D8400B 18000113
	v_accvgpr_read_b32 v12, a24                                // 000000004E70: D3D8400C 18000118
	v_accvgpr_read_b32 v13, a25                                // 000000004E78: D3D8400D 18000119
	v_accvgpr_read_b32 v14, a26                                // 000000004E80: D3D8400E 1800011A
	v_accvgpr_read_b32 v15, a27                                // 000000004E88: D3D8400F 1800011B
	v_cvt_pk_bf16_f32 v16, v8, v9                              // 000000004E90: D2680010 00021308
	v_cvt_pk_bf16_f32 v17, v10, v11                            // 000000004E98: D2680011 0002170A
	v_cvt_pk_bf16_f32 v18, v12, v13                            // 000000004EA0: D2680012 00021B0C
	v_cvt_pk_bf16_f32 v19, v14, v15                            // 000000004EA8: D2680013 00021F0E
	s_nop 1                                                    // 000000004EB0: BF800001
	v_permlane16_swap_b32_e32 v16, v18                         // 000000004EB4: 7E20B312
	s_nop 1                                                    // 000000004EB8: BF800001
	v_permlane16_swap_b32_e32 v17, v19                         // 000000004EBC: 7E22B313
	s_nop 1                                                    // 000000004EC0: BF800001
	buffer_store_dwordx4 v[16:19], v166, s[4:7], 0 offen       // 000000004EC4: E07C1000 800110A6
	v_add_u32_e32 v166, s62, v166                              // 000000004ECC: 694D4C3E
	v_accvgpr_read_b32 v8, a20                                 // 000000004ED0: D3D84008 18000114
	v_accvgpr_read_b32 v9, a21                                 // 000000004ED8: D3D84009 18000115
	v_accvgpr_read_b32 v10, a22                                // 000000004EE0: D3D8400A 18000116
	v_accvgpr_read_b32 v11, a23                                // 000000004EE8: D3D8400B 18000117
	v_accvgpr_read_b32 v12, a28                                // 000000004EF0: D3D8400C 1800011C
	v_accvgpr_read_b32 v13, a29                                // 000000004EF8: D3D8400D 1800011D
	v_accvgpr_read_b32 v14, a30                                // 000000004F00: D3D8400E 1800011E
	v_accvgpr_read_b32 v15, a31                                // 000000004F08: D3D8400F 1800011F
	v_cvt_pk_bf16_f32 v16, v8, v9                              // 000000004F10: D2680010 00021308
	v_cvt_pk_bf16_f32 v17, v10, v11                            // 000000004F18: D2680011 0002170A
	v_cvt_pk_bf16_f32 v18, v12, v13                            // 000000004F20: D2680012 00021B0C
	v_cvt_pk_bf16_f32 v19, v14, v15                            // 000000004F28: D2680013 00021F0E
	s_nop 1                                                    // 000000004F30: BF800001
	v_permlane16_swap_b32_e32 v16, v18                         // 000000004F34: 7E20B312
	s_nop 1                                                    // 000000004F38: BF800001
	v_permlane16_swap_b32_e32 v17, v19                         // 000000004F3C: 7E22B313
	s_nop 1                                                    // 000000004F40: BF800001
	buffer_store_dwordx4 v[16:19], v166, s[4:7], 0 offen       // 000000004F44: E07C1000 800110A6
	v_add_u32_e32 v166, s62, v166                              // 000000004F4C: 694D4C3E
	v_accvgpr_read_b32 v8, a80                                 // 000000004F50: D3D84008 18000150
	v_accvgpr_read_b32 v9, a81                                 // 000000004F58: D3D84009 18000151
	v_accvgpr_read_b32 v10, a82                                // 000000004F60: D3D8400A 18000152
	v_accvgpr_read_b32 v11, a83                                // 000000004F68: D3D8400B 18000153
	v_accvgpr_read_b32 v12, a88                                // 000000004F70: D3D8400C 18000158
	v_accvgpr_read_b32 v13, a89                                // 000000004F78: D3D8400D 18000159
	v_accvgpr_read_b32 v14, a90                                // 000000004F80: D3D8400E 1800015A
	v_accvgpr_read_b32 v15, a91                                // 000000004F88: D3D8400F 1800015B
	v_cvt_pk_bf16_f32 v16, v8, v9                              // 000000004F90: D2680010 00021308
	v_cvt_pk_bf16_f32 v17, v10, v11                            // 000000004F98: D2680011 0002170A
	v_cvt_pk_bf16_f32 v18, v12, v13                            // 000000004FA0: D2680012 00021B0C
	v_cvt_pk_bf16_f32 v19, v14, v15                            // 000000004FA8: D2680013 00021F0E
	s_nop 1                                                    // 000000004FB0: BF800001
	v_permlane16_swap_b32_e32 v16, v18                         // 000000004FB4: 7E20B312
	s_nop 1                                                    // 000000004FB8: BF800001
	v_permlane16_swap_b32_e32 v17, v19                         // 000000004FBC: 7E22B313
	s_nop 1                                                    // 000000004FC0: BF800001
	buffer_store_dwordx4 v[16:19], v166, s[4:7], 0 offen       // 000000004FC4: E07C1000 800110A6
	v_add_u32_e32 v166, s62, v166                              // 000000004FCC: 694D4C3E
	v_accvgpr_read_b32 v8, a84                                 // 000000004FD0: D3D84008 18000154
	v_accvgpr_read_b32 v9, a85                                 // 000000004FD8: D3D84009 18000155
	v_accvgpr_read_b32 v10, a86                                // 000000004FE0: D3D8400A 18000156
	v_accvgpr_read_b32 v11, a87                                // 000000004FE8: D3D8400B 18000157
	v_accvgpr_read_b32 v12, a92                                // 000000004FF0: D3D8400C 1800015C
	v_accvgpr_read_b32 v13, a93                                // 000000004FF8: D3D8400D 1800015D
	v_accvgpr_read_b32 v14, a94                                // 000000005000: D3D8400E 1800015E
	v_accvgpr_read_b32 v15, a95                                // 000000005008: D3D8400F 1800015F
	v_cvt_pk_bf16_f32 v16, v8, v9                              // 000000005010: D2680010 00021308
	v_cvt_pk_bf16_f32 v17, v10, v11                            // 000000005018: D2680011 0002170A
	v_cvt_pk_bf16_f32 v18, v12, v13                            // 000000005020: D2680012 00021B0C
	v_cvt_pk_bf16_f32 v19, v14, v15                            // 000000005028: D2680013 00021F0E
	s_nop 1                                                    // 000000005030: BF800001
	v_permlane16_swap_b32_e32 v16, v18                         // 000000005034: 7E20B312
	s_nop 1                                                    // 000000005038: BF800001
	v_permlane16_swap_b32_e32 v17, v19                         // 00000000503C: 7E22B313
	s_nop 1                                                    // 000000005040: BF800001
	buffer_store_dwordx4 v[16:19], v166, s[4:7], 0 offen       // 000000005044: E07C1000 800110A6
	v_add_u32_e32 v166, s62, v166                              // 00000000504C: 694D4C3E
	v_add_u32_e32 v166, 0x80, v162                             // 000000005050: 694D44FF 00000080
	v_accvgpr_read_b32 v8, a32                                 // 000000005058: D3D84008 18000120
	v_accvgpr_read_b32 v9, a33                                 // 000000005060: D3D84009 18000121
	v_accvgpr_read_b32 v10, a34                                // 000000005068: D3D8400A 18000122
	v_accvgpr_read_b32 v11, a35                                // 000000005070: D3D8400B 18000123
	v_accvgpr_read_b32 v12, a40                                // 000000005078: D3D8400C 18000128
	v_accvgpr_read_b32 v13, a41                                // 000000005080: D3D8400D 18000129
	v_accvgpr_read_b32 v14, a42                                // 000000005088: D3D8400E 1800012A
	v_accvgpr_read_b32 v15, a43                                // 000000005090: D3D8400F 1800012B
	v_cvt_pk_bf16_f32 v16, v8, v9                              // 000000005098: D2680010 00021308
	v_cvt_pk_bf16_f32 v17, v10, v11                            // 0000000050A0: D2680011 0002170A
	v_cvt_pk_bf16_f32 v18, v12, v13                            // 0000000050A8: D2680012 00021B0C
	v_cvt_pk_bf16_f32 v19, v14, v15                            // 0000000050B0: D2680013 00021F0E
	s_nop 1                                                    // 0000000050B8: BF800001
	v_permlane16_swap_b32_e32 v16, v18                         // 0000000050BC: 7E20B312
	s_nop 1                                                    // 0000000050C0: BF800001
	v_permlane16_swap_b32_e32 v17, v19                         // 0000000050C4: 7E22B313
	s_nop 1                                                    // 0000000050C8: BF800001
	buffer_store_dwordx4 v[16:19], v166, s[4:7], 0 offen       // 0000000050CC: E07C1000 800110A6
	v_add_u32_e32 v166, s62, v166                              // 0000000050D4: 694D4C3E
	v_accvgpr_read_b32 v8, a36                                 // 0000000050D8: D3D84008 18000124
	v_accvgpr_read_b32 v9, a37                                 // 0000000050E0: D3D84009 18000125
	v_accvgpr_read_b32 v10, a38                                // 0000000050E8: D3D8400A 18000126
	v_accvgpr_read_b32 v11, a39                                // 0000000050F0: D3D8400B 18000127
	v_accvgpr_read_b32 v12, a44                                // 0000000050F8: D3D8400C 1800012C
	v_accvgpr_read_b32 v13, a45                                // 000000005100: D3D8400D 1800012D
	v_accvgpr_read_b32 v14, a46                                // 000000005108: D3D8400E 1800012E
	v_accvgpr_read_b32 v15, a47                                // 000000005110: D3D8400F 1800012F
	v_cvt_pk_bf16_f32 v16, v8, v9                              // 000000005118: D2680010 00021308
	v_cvt_pk_bf16_f32 v17, v10, v11                            // 000000005120: D2680011 0002170A
	v_cvt_pk_bf16_f32 v18, v12, v13                            // 000000005128: D2680012 00021B0C
	v_cvt_pk_bf16_f32 v19, v14, v15                            // 000000005130: D2680013 00021F0E
	s_nop 1                                                    // 000000005138: BF800001
	v_permlane16_swap_b32_e32 v16, v18                         // 00000000513C: 7E20B312
	s_nop 1                                                    // 000000005140: BF800001
	v_permlane16_swap_b32_e32 v17, v19                         // 000000005144: 7E22B313
	s_nop 1                                                    // 000000005148: BF800001
	buffer_store_dwordx4 v[16:19], v166, s[4:7], 0 offen       // 00000000514C: E07C1000 800110A6
	v_add_u32_e32 v166, s62, v166                              // 000000005154: 694D4C3E
	v_accvgpr_read_b32 v8, a96                                 // 000000005158: D3D84008 18000160
	v_accvgpr_read_b32 v9, a97                                 // 000000005160: D3D84009 18000161
	v_accvgpr_read_b32 v10, a98                                // 000000005168: D3D8400A 18000162
	v_accvgpr_read_b32 v11, a99                                // 000000005170: D3D8400B 18000163
	v_accvgpr_read_b32 v12, a104                               // 000000005178: D3D8400C 18000168
	v_accvgpr_read_b32 v13, a105                               // 000000005180: D3D8400D 18000169
	v_accvgpr_read_b32 v14, a106                               // 000000005188: D3D8400E 1800016A
	v_accvgpr_read_b32 v15, a107                               // 000000005190: D3D8400F 1800016B
	v_cvt_pk_bf16_f32 v16, v8, v9                              // 000000005198: D2680010 00021308
	v_cvt_pk_bf16_f32 v17, v10, v11                            // 0000000051A0: D2680011 0002170A
	v_cvt_pk_bf16_f32 v18, v12, v13                            // 0000000051A8: D2680012 00021B0C
	v_cvt_pk_bf16_f32 v19, v14, v15                            // 0000000051B0: D2680013 00021F0E
	s_nop 1                                                    // 0000000051B8: BF800001
	v_permlane16_swap_b32_e32 v16, v18                         // 0000000051BC: 7E20B312
	s_nop 1                                                    // 0000000051C0: BF800001
	v_permlane16_swap_b32_e32 v17, v19                         // 0000000051C4: 7E22B313
	s_nop 1                                                    // 0000000051C8: BF800001
	buffer_store_dwordx4 v[16:19], v166, s[4:7], 0 offen       // 0000000051CC: E07C1000 800110A6
	v_add_u32_e32 v166, s62, v166                              // 0000000051D4: 694D4C3E
	v_accvgpr_read_b32 v8, a100                                // 0000000051D8: D3D84008 18000164
	v_accvgpr_read_b32 v9, a101                                // 0000000051E0: D3D84009 18000165
	v_accvgpr_read_b32 v10, a102                               // 0000000051E8: D3D8400A 18000166
	v_accvgpr_read_b32 v11, a103                               // 0000000051F0: D3D8400B 18000167
	v_accvgpr_read_b32 v12, a108                               // 0000000051F8: D3D8400C 1800016C
	v_accvgpr_read_b32 v13, a109                               // 000000005200: D3D8400D 1800016D
	v_accvgpr_read_b32 v14, a110                               // 000000005208: D3D8400E 1800016E
	v_accvgpr_read_b32 v15, a111                               // 000000005210: D3D8400F 1800016F
	v_cvt_pk_bf16_f32 v16, v8, v9                              // 000000005218: D2680010 00021308
	v_cvt_pk_bf16_f32 v17, v10, v11                            // 000000005220: D2680011 0002170A
	v_cvt_pk_bf16_f32 v18, v12, v13                            // 000000005228: D2680012 00021B0C
	v_cvt_pk_bf16_f32 v19, v14, v15                            // 000000005230: D2680013 00021F0E
	s_nop 1                                                    // 000000005238: BF800001
	v_permlane16_swap_b32_e32 v16, v18                         // 00000000523C: 7E20B312
	s_nop 1                                                    // 000000005240: BF800001
	v_permlane16_swap_b32_e32 v17, v19                         // 000000005244: 7E22B313
	s_nop 1                                                    // 000000005248: BF800001
	buffer_store_dwordx4 v[16:19], v166, s[4:7], 0 offen       // 00000000524C: E07C1000 800110A6
	v_add_u32_e32 v166, s62, v166                              // 000000005254: 694D4C3E
	v_add_u32_e32 v166, 0xc0, v162                             // 000000005258: 694D44FF 000000C0
	v_accvgpr_read_b32 v8, a48                                 // 000000005260: D3D84008 18000130
	v_accvgpr_read_b32 v9, a49                                 // 000000005268: D3D84009 18000131
	v_accvgpr_read_b32 v10, a50                                // 000000005270: D3D8400A 18000132
	v_accvgpr_read_b32 v11, a51                                // 000000005278: D3D8400B 18000133
	v_accvgpr_read_b32 v12, a56                                // 000000005280: D3D8400C 18000138
	v_accvgpr_read_b32 v13, a57                                // 000000005288: D3D8400D 18000139
	v_accvgpr_read_b32 v14, a58                                // 000000005290: D3D8400E 1800013A
	v_accvgpr_read_b32 v15, a59                                // 000000005298: D3D8400F 1800013B
	v_cvt_pk_bf16_f32 v16, v8, v9                              // 0000000052A0: D2680010 00021308
	v_cvt_pk_bf16_f32 v17, v10, v11                            // 0000000052A8: D2680011 0002170A
	v_cvt_pk_bf16_f32 v18, v12, v13                            // 0000000052B0: D2680012 00021B0C
	v_cvt_pk_bf16_f32 v19, v14, v15                            // 0000000052B8: D2680013 00021F0E
	s_nop 1                                                    // 0000000052C0: BF800001
	v_permlane16_swap_b32_e32 v16, v18                         // 0000000052C4: 7E20B312
	s_nop 1                                                    // 0000000052C8: BF800001
	v_permlane16_swap_b32_e32 v17, v19                         // 0000000052CC: 7E22B313
	s_nop 1                                                    // 0000000052D0: BF800001
	buffer_store_dwordx4 v[16:19], v166, s[4:7], 0 offen       // 0000000052D4: E07C1000 800110A6
	v_add_u32_e32 v166, s62, v166                              // 0000000052DC: 694D4C3E
	v_accvgpr_read_b32 v8, a52                                 // 0000000052E0: D3D84008 18000134
	v_accvgpr_read_b32 v9, a53                                 // 0000000052E8: D3D84009 18000135
	v_accvgpr_read_b32 v10, a54                                // 0000000052F0: D3D8400A 18000136
	v_accvgpr_read_b32 v11, a55                                // 0000000052F8: D3D8400B 18000137
	v_accvgpr_read_b32 v12, a60                                // 000000005300: D3D8400C 1800013C
	v_accvgpr_read_b32 v13, a61                                // 000000005308: D3D8400D 1800013D
	v_accvgpr_read_b32 v14, a62                                // 000000005310: D3D8400E 1800013E
	v_accvgpr_read_b32 v15, a63                                // 000000005318: D3D8400F 1800013F
	v_cvt_pk_bf16_f32 v16, v8, v9                              // 000000005320: D2680010 00021308
	v_cvt_pk_bf16_f32 v17, v10, v11                            // 000000005328: D2680011 0002170A
	v_cvt_pk_bf16_f32 v18, v12, v13                            // 000000005330: D2680012 00021B0C
	v_cvt_pk_bf16_f32 v19, v14, v15                            // 000000005338: D2680013 00021F0E
	s_nop 1                                                    // 000000005340: BF800001
	v_permlane16_swap_b32_e32 v16, v18                         // 000000005344: 7E20B312
	s_nop 1                                                    // 000000005348: BF800001
	v_permlane16_swap_b32_e32 v17, v19                         // 00000000534C: 7E22B313
	s_nop 1                                                    // 000000005350: BF800001
	buffer_store_dwordx4 v[16:19], v166, s[4:7], 0 offen       // 000000005354: E07C1000 800110A6
	v_add_u32_e32 v166, s62, v166                              // 00000000535C: 694D4C3E
	v_accvgpr_read_b32 v8, a112                                // 000000005360: D3D84008 18000170
	v_accvgpr_read_b32 v9, a113                                // 000000005368: D3D84009 18000171
	v_accvgpr_read_b32 v10, a114                               // 000000005370: D3D8400A 18000172
	v_accvgpr_read_b32 v11, a115                               // 000000005378: D3D8400B 18000173
	v_accvgpr_read_b32 v12, a120                               // 000000005380: D3D8400C 18000178
	v_accvgpr_read_b32 v13, a121                               // 000000005388: D3D8400D 18000179
	v_accvgpr_read_b32 v14, a122                               // 000000005390: D3D8400E 1800017A
	v_accvgpr_read_b32 v15, a123                               // 000000005398: D3D8400F 1800017B
	v_cvt_pk_bf16_f32 v16, v8, v9                              // 0000000053A0: D2680010 00021308
	v_cvt_pk_bf16_f32 v17, v10, v11                            // 0000000053A8: D2680011 0002170A
	v_cvt_pk_bf16_f32 v18, v12, v13                            // 0000000053B0: D2680012 00021B0C
	v_cvt_pk_bf16_f32 v19, v14, v15                            // 0000000053B8: D2680013 00021F0E
	s_nop 1                                                    // 0000000053C0: BF800001
	v_permlane16_swap_b32_e32 v16, v18                         // 0000000053C4: 7E20B312
	s_nop 1                                                    // 0000000053C8: BF800001
	v_permlane16_swap_b32_e32 v17, v19                         // 0000000053CC: 7E22B313
	s_nop 1                                                    // 0000000053D0: BF800001
	buffer_store_dwordx4 v[16:19], v166, s[4:7], 0 offen       // 0000000053D4: E07C1000 800110A6
	v_add_u32_e32 v166, s62, v166                              // 0000000053DC: 694D4C3E
	v_accvgpr_read_b32 v8, a116                                // 0000000053E0: D3D84008 18000174
	v_accvgpr_read_b32 v9, a117                                // 0000000053E8: D3D84009 18000175
	v_accvgpr_read_b32 v10, a118                               // 0000000053F0: D3D8400A 18000176
	v_accvgpr_read_b32 v11, a119                               // 0000000053F8: D3D8400B 18000177
	v_accvgpr_read_b32 v12, a124                               // 000000005400: D3D8400C 1800017C
	v_accvgpr_read_b32 v13, a125                               // 000000005408: D3D8400D 1800017D
	v_accvgpr_read_b32 v14, a126                               // 000000005410: D3D8400E 1800017E
	v_accvgpr_read_b32 v15, a127                               // 000000005418: D3D8400F 1800017F
	v_cvt_pk_bf16_f32 v16, v8, v9                              // 000000005420: D2680010 00021308
	v_cvt_pk_bf16_f32 v17, v10, v11                            // 000000005428: D2680011 0002170A
	v_cvt_pk_bf16_f32 v18, v12, v13                            // 000000005430: D2680012 00021B0C
	v_cvt_pk_bf16_f32 v19, v14, v15                            // 000000005438: D2680013 00021F0E
	s_nop 1                                                    // 000000005440: BF800001
	v_permlane16_swap_b32_e32 v16, v18                         // 000000005444: 7E20B312
	s_nop 1                                                    // 000000005448: BF800001
	v_permlane16_swap_b32_e32 v17, v19                         // 00000000544C: 7E22B313
	s_nop 1                                                    // 000000005450: BF800001
	buffer_store_dwordx4 v[16:19], v166, s[4:7], 0 offen       // 000000005454: E07C1000 800110A6
	v_add_u32_e32 v166, s62, v166                              // 00000000545C: 694D4C3E
	s_branch label_0C2C                                        // 000000005460: BF820213

0000000000005464 <label_0A19>:
	s_mul_i32 s62, s36, 16                                     // 000000005464: 923E9024
	s_cmp_lt_i32 s60, s44                                      // 000000005468: BF042C3C
	s_cbranch_scc0 label_0C2C                                  // 00000000546C: BF840210
	s_addk_i32 s60, 0x20                                       // 000000005470: B73C0020
	v_add_u32_e32 v166, 0, v162                                // 000000005474: 694D4480
	v_accvgpr_read_b32 v8, a0                                  // 000000005478: D3D84008 18000100
	v_accvgpr_read_b32 v9, a1                                  // 000000005480: D3D84009 18000101
	v_accvgpr_read_b32 v10, a2                                 // 000000005488: D3D8400A 18000102
	v_accvgpr_read_b32 v11, a3                                 // 000000005490: D3D8400B 18000103
	v_accvgpr_read_b32 v12, a8                                 // 000000005498: D3D8400C 18000108
	v_accvgpr_read_b32 v13, a9                                 // 0000000054A0: D3D8400D 18000109
	v_accvgpr_read_b32 v14, a10                                // 0000000054A8: D3D8400E 1800010A
	v_accvgpr_read_b32 v15, a11                                // 0000000054B0: D3D8400F 1800010B
	v_cvt_pk_bf16_f32 v16, v8, v9                              // 0000000054B8: D2680010 00021308
	v_cvt_pk_bf16_f32 v17, v10, v11                            // 0000000054C0: D2680011 0002170A
	v_cvt_pk_bf16_f32 v18, v12, v13                            // 0000000054C8: D2680012 00021B0C
	v_cvt_pk_bf16_f32 v19, v14, v15                            // 0000000054D0: D2680013 00021F0E
	s_nop 1                                                    // 0000000054D8: BF800001
	v_permlane16_swap_b32_e32 v16, v18                         // 0000000054DC: 7E20B312
	s_nop 1                                                    // 0000000054E0: BF800001
	v_permlane16_swap_b32_e32 v17, v19                         // 0000000054E4: 7E22B313
	s_nop 1                                                    // 0000000054E8: BF800001
	buffer_store_dwordx4 v[16:19], v166, s[4:7], 0 offen       // 0000000054EC: E07C1000 800110A6
	v_add_u32_e32 v166, s62, v166                              // 0000000054F4: 694D4C3E
	v_accvgpr_read_b32 v8, a4                                  // 0000000054F8: D3D84008 18000104
	v_accvgpr_read_b32 v9, a5                                  // 000000005500: D3D84009 18000105
	v_accvgpr_read_b32 v10, a6                                 // 000000005508: D3D8400A 18000106
	v_accvgpr_read_b32 v11, a7                                 // 000000005510: D3D8400B 18000107
	v_accvgpr_read_b32 v12, a12                                // 000000005518: D3D8400C 1800010C
	v_accvgpr_read_b32 v13, a13                                // 000000005520: D3D8400D 1800010D
	v_accvgpr_read_b32 v14, a14                                // 000000005528: D3D8400E 1800010E
	v_accvgpr_read_b32 v15, a15                                // 000000005530: D3D8400F 1800010F
	v_cvt_pk_bf16_f32 v16, v8, v9                              // 000000005538: D2680010 00021308
	v_cvt_pk_bf16_f32 v17, v10, v11                            // 000000005540: D2680011 0002170A
	v_cvt_pk_bf16_f32 v18, v12, v13                            // 000000005548: D2680012 00021B0C
	v_cvt_pk_bf16_f32 v19, v14, v15                            // 000000005550: D2680013 00021F0E
	s_nop 1                                                    // 000000005558: BF800001
	v_permlane16_swap_b32_e32 v16, v18                         // 00000000555C: 7E20B312
	s_nop 1                                                    // 000000005560: BF800001
	v_permlane16_swap_b32_e32 v17, v19                         // 000000005564: 7E22B313
	s_nop 1                                                    // 000000005568: BF800001
	buffer_store_dwordx4 v[16:19], v166, s[4:7], 0 offen       // 00000000556C: E07C1000 800110A6
	v_add_u32_e32 v166, s62, v166                              // 000000005574: 694D4C3E
	v_accvgpr_read_b32 v8, a64                                 // 000000005578: D3D84008 18000140
	v_accvgpr_read_b32 v9, a65                                 // 000000005580: D3D84009 18000141
	v_accvgpr_read_b32 v10, a66                                // 000000005588: D3D8400A 18000142
	v_accvgpr_read_b32 v11, a67                                // 000000005590: D3D8400B 18000143
	v_accvgpr_read_b32 v12, a72                                // 000000005598: D3D8400C 18000148
	v_accvgpr_read_b32 v13, a73                                // 0000000055A0: D3D8400D 18000149
	v_accvgpr_read_b32 v14, a74                                // 0000000055A8: D3D8400E 1800014A
	v_accvgpr_read_b32 v15, a75                                // 0000000055B0: D3D8400F 1800014B
	v_cvt_pk_bf16_f32 v16, v8, v9                              // 0000000055B8: D2680010 00021308
	v_cvt_pk_bf16_f32 v17, v10, v11                            // 0000000055C0: D2680011 0002170A
	v_cvt_pk_bf16_f32 v18, v12, v13                            // 0000000055C8: D2680012 00021B0C
	v_cvt_pk_bf16_f32 v19, v14, v15                            // 0000000055D0: D2680013 00021F0E
	s_nop 1                                                    // 0000000055D8: BF800001
	v_permlane16_swap_b32_e32 v16, v18                         // 0000000055DC: 7E20B312
	s_nop 1                                                    // 0000000055E0: BF800001
	v_permlane16_swap_b32_e32 v17, v19                         // 0000000055E4: 7E22B313
	s_nop 1                                                    // 0000000055E8: BF800001
	buffer_store_dwordx4 v[16:19], v166, s[4:7], 0 offen       // 0000000055EC: E07C1000 800110A6
	v_add_u32_e32 v166, s62, v166                              // 0000000055F4: 694D4C3E
	v_accvgpr_read_b32 v8, a68                                 // 0000000055F8: D3D84008 18000144
	v_accvgpr_read_b32 v9, a69                                 // 000000005600: D3D84009 18000145
	v_accvgpr_read_b32 v10, a70                                // 000000005608: D3D8400A 18000146
	v_accvgpr_read_b32 v11, a71                                // 000000005610: D3D8400B 18000147
	v_accvgpr_read_b32 v12, a76                                // 000000005618: D3D8400C 1800014C
	v_accvgpr_read_b32 v13, a77                                // 000000005620: D3D8400D 1800014D
	v_accvgpr_read_b32 v14, a78                                // 000000005628: D3D8400E 1800014E
	v_accvgpr_read_b32 v15, a79                                // 000000005630: D3D8400F 1800014F
	v_cvt_pk_bf16_f32 v16, v8, v9                              // 000000005638: D2680010 00021308
	v_cvt_pk_bf16_f32 v17, v10, v11                            // 000000005640: D2680011 0002170A
	v_cvt_pk_bf16_f32 v18, v12, v13                            // 000000005648: D2680012 00021B0C
	v_cvt_pk_bf16_f32 v19, v14, v15                            // 000000005650: D2680013 00021F0E
	s_nop 1                                                    // 000000005658: BF800001
	v_permlane16_swap_b32_e32 v16, v18                         // 00000000565C: 7E20B312
	s_nop 1                                                    // 000000005660: BF800001
	v_permlane16_swap_b32_e32 v17, v19                         // 000000005664: 7E22B313
	s_nop 1                                                    // 000000005668: BF800001
	buffer_store_dwordx4 v[16:19], v166, s[4:7], 0 offen       // 00000000566C: E07C1000 800110A6
	v_add_u32_e32 v166, s62, v166                              // 000000005674: 694D4C3E
	s_cmp_lt_i32 s60, s44                                      // 000000005678: BF042C3C
	s_cbranch_scc0 label_0C2C                                  // 00000000567C: BF84018C
	s_addk_i32 s60, 0x20                                       // 000000005680: B73C0020
	v_add_u32_e32 v166, 64, v162                               // 000000005684: 694D44C0
	v_accvgpr_read_b32 v8, a16                                 // 000000005688: D3D84008 18000110
	v_accvgpr_read_b32 v9, a17                                 // 000000005690: D3D84009 18000111
	v_accvgpr_read_b32 v10, a18                                // 000000005698: D3D8400A 18000112
	v_accvgpr_read_b32 v11, a19                                // 0000000056A0: D3D8400B 18000113
	v_accvgpr_read_b32 v12, a24                                // 0000000056A8: D3D8400C 18000118
	v_accvgpr_read_b32 v13, a25                                // 0000000056B0: D3D8400D 18000119
	v_accvgpr_read_b32 v14, a26                                // 0000000056B8: D3D8400E 1800011A
	v_accvgpr_read_b32 v15, a27                                // 0000000056C0: D3D8400F 1800011B
	v_cvt_pk_bf16_f32 v16, v8, v9                              // 0000000056C8: D2680010 00021308
	v_cvt_pk_bf16_f32 v17, v10, v11                            // 0000000056D0: D2680011 0002170A
	v_cvt_pk_bf16_f32 v18, v12, v13                            // 0000000056D8: D2680012 00021B0C
	v_cvt_pk_bf16_f32 v19, v14, v15                            // 0000000056E0: D2680013 00021F0E
	s_nop 1                                                    // 0000000056E8: BF800001
	v_permlane16_swap_b32_e32 v16, v18                         // 0000000056EC: 7E20B312
	s_nop 1                                                    // 0000000056F0: BF800001
	v_permlane16_swap_b32_e32 v17, v19                         // 0000000056F4: 7E22B313
	s_nop 1                                                    // 0000000056F8: BF800001
	buffer_store_dwordx4 v[16:19], v166, s[4:7], 0 offen       // 0000000056FC: E07C1000 800110A6
	v_add_u32_e32 v166, s62, v166                              // 000000005704: 694D4C3E
	v_accvgpr_read_b32 v8, a20                                 // 000000005708: D3D84008 18000114
	v_accvgpr_read_b32 v9, a21                                 // 000000005710: D3D84009 18000115
	v_accvgpr_read_b32 v10, a22                                // 000000005718: D3D8400A 18000116
	v_accvgpr_read_b32 v11, a23                                // 000000005720: D3D8400B 18000117
	v_accvgpr_read_b32 v12, a28                                // 000000005728: D3D8400C 1800011C
	v_accvgpr_read_b32 v13, a29                                // 000000005730: D3D8400D 1800011D
	v_accvgpr_read_b32 v14, a30                                // 000000005738: D3D8400E 1800011E
	v_accvgpr_read_b32 v15, a31                                // 000000005740: D3D8400F 1800011F
	v_cvt_pk_bf16_f32 v16, v8, v9                              // 000000005748: D2680010 00021308
	v_cvt_pk_bf16_f32 v17, v10, v11                            // 000000005750: D2680011 0002170A
	v_cvt_pk_bf16_f32 v18, v12, v13                            // 000000005758: D2680012 00021B0C
	v_cvt_pk_bf16_f32 v19, v14, v15                            // 000000005760: D2680013 00021F0E
	s_nop 1                                                    // 000000005768: BF800001
	v_permlane16_swap_b32_e32 v16, v18                         // 00000000576C: 7E20B312
	s_nop 1                                                    // 000000005770: BF800001
	v_permlane16_swap_b32_e32 v17, v19                         // 000000005774: 7E22B313
	s_nop 1                                                    // 000000005778: BF800001
	buffer_store_dwordx4 v[16:19], v166, s[4:7], 0 offen       // 00000000577C: E07C1000 800110A6
	v_add_u32_e32 v166, s62, v166                              // 000000005784: 694D4C3E
	v_accvgpr_read_b32 v8, a80                                 // 000000005788: D3D84008 18000150
	v_accvgpr_read_b32 v9, a81                                 // 000000005790: D3D84009 18000151
	v_accvgpr_read_b32 v10, a82                                // 000000005798: D3D8400A 18000152
	v_accvgpr_read_b32 v11, a83                                // 0000000057A0: D3D8400B 18000153
	v_accvgpr_read_b32 v12, a88                                // 0000000057A8: D3D8400C 18000158
	v_accvgpr_read_b32 v13, a89                                // 0000000057B0: D3D8400D 18000159
	v_accvgpr_read_b32 v14, a90                                // 0000000057B8: D3D8400E 1800015A
	v_accvgpr_read_b32 v15, a91                                // 0000000057C0: D3D8400F 1800015B
	v_cvt_pk_bf16_f32 v16, v8, v9                              // 0000000057C8: D2680010 00021308
	v_cvt_pk_bf16_f32 v17, v10, v11                            // 0000000057D0: D2680011 0002170A
	v_cvt_pk_bf16_f32 v18, v12, v13                            // 0000000057D8: D2680012 00021B0C
	v_cvt_pk_bf16_f32 v19, v14, v15                            // 0000000057E0: D2680013 00021F0E
	s_nop 1                                                    // 0000000057E8: BF800001
	v_permlane16_swap_b32_e32 v16, v18                         // 0000000057EC: 7E20B312
	s_nop 1                                                    // 0000000057F0: BF800001
	v_permlane16_swap_b32_e32 v17, v19                         // 0000000057F4: 7E22B313
	s_nop 1                                                    // 0000000057F8: BF800001
	buffer_store_dwordx4 v[16:19], v166, s[4:7], 0 offen       // 0000000057FC: E07C1000 800110A6
	v_add_u32_e32 v166, s62, v166                              // 000000005804: 694D4C3E
	v_accvgpr_read_b32 v8, a84                                 // 000000005808: D3D84008 18000154
	v_accvgpr_read_b32 v9, a85                                 // 000000005810: D3D84009 18000155
	v_accvgpr_read_b32 v10, a86                                // 000000005818: D3D8400A 18000156
	v_accvgpr_read_b32 v11, a87                                // 000000005820: D3D8400B 18000157
	v_accvgpr_read_b32 v12, a92                                // 000000005828: D3D8400C 1800015C
	v_accvgpr_read_b32 v13, a93                                // 000000005830: D3D8400D 1800015D
	v_accvgpr_read_b32 v14, a94                                // 000000005838: D3D8400E 1800015E
	v_accvgpr_read_b32 v15, a95                                // 000000005840: D3D8400F 1800015F
	v_cvt_pk_bf16_f32 v16, v8, v9                              // 000000005848: D2680010 00021308
	v_cvt_pk_bf16_f32 v17, v10, v11                            // 000000005850: D2680011 0002170A
	v_cvt_pk_bf16_f32 v18, v12, v13                            // 000000005858: D2680012 00021B0C
	v_cvt_pk_bf16_f32 v19, v14, v15                            // 000000005860: D2680013 00021F0E
	s_nop 1                                                    // 000000005868: BF800001
	v_permlane16_swap_b32_e32 v16, v18                         // 00000000586C: 7E20B312
	s_nop 1                                                    // 000000005870: BF800001
	v_permlane16_swap_b32_e32 v17, v19                         // 000000005874: 7E22B313
	s_nop 1                                                    // 000000005878: BF800001
	buffer_store_dwordx4 v[16:19], v166, s[4:7], 0 offen       // 00000000587C: E07C1000 800110A6
	v_add_u32_e32 v166, s62, v166                              // 000000005884: 694D4C3E
	s_cmp_lt_i32 s60, s44                                      // 000000005888: BF042C3C
	s_cbranch_scc0 label_0C2C                                  // 00000000588C: BF840108
	s_addk_i32 s60, 0x20                                       // 000000005890: B73C0020
	v_add_u32_e32 v166, 0x80, v162                             // 000000005894: 694D44FF 00000080
	v_accvgpr_read_b32 v8, a32                                 // 00000000589C: D3D84008 18000120
	v_accvgpr_read_b32 v9, a33                                 // 0000000058A4: D3D84009 18000121
	v_accvgpr_read_b32 v10, a34                                // 0000000058AC: D3D8400A 18000122
	v_accvgpr_read_b32 v11, a35                                // 0000000058B4: D3D8400B 18000123
	v_accvgpr_read_b32 v12, a40                                // 0000000058BC: D3D8400C 18000128
	v_accvgpr_read_b32 v13, a41                                // 0000000058C4: D3D8400D 18000129
	v_accvgpr_read_b32 v14, a42                                // 0000000058CC: D3D8400E 1800012A
	v_accvgpr_read_b32 v15, a43                                // 0000000058D4: D3D8400F 1800012B
	v_cvt_pk_bf16_f32 v16, v8, v9                              // 0000000058DC: D2680010 00021308
	v_cvt_pk_bf16_f32 v17, v10, v11                            // 0000000058E4: D2680011 0002170A
	v_cvt_pk_bf16_f32 v18, v12, v13                            // 0000000058EC: D2680012 00021B0C
	v_cvt_pk_bf16_f32 v19, v14, v15                            // 0000000058F4: D2680013 00021F0E
	s_nop 1                                                    // 0000000058FC: BF800001
	v_permlane16_swap_b32_e32 v16, v18                         // 000000005900: 7E20B312
	s_nop 1                                                    // 000000005904: BF800001
	v_permlane16_swap_b32_e32 v17, v19                         // 000000005908: 7E22B313
	s_nop 1                                                    // 00000000590C: BF800001
	buffer_store_dwordx4 v[16:19], v166, s[4:7], 0 offen       // 000000005910: E07C1000 800110A6
	v_add_u32_e32 v166, s62, v166                              // 000000005918: 694D4C3E
	v_accvgpr_read_b32 v8, a36                                 // 00000000591C: D3D84008 18000124
	v_accvgpr_read_b32 v9, a37                                 // 000000005924: D3D84009 18000125
	v_accvgpr_read_b32 v10, a38                                // 00000000592C: D3D8400A 18000126
	v_accvgpr_read_b32 v11, a39                                // 000000005934: D3D8400B 18000127
	v_accvgpr_read_b32 v12, a44                                // 00000000593C: D3D8400C 1800012C
	v_accvgpr_read_b32 v13, a45                                // 000000005944: D3D8400D 1800012D
	v_accvgpr_read_b32 v14, a46                                // 00000000594C: D3D8400E 1800012E
	v_accvgpr_read_b32 v15, a47                                // 000000005954: D3D8400F 1800012F
	v_cvt_pk_bf16_f32 v16, v8, v9                              // 00000000595C: D2680010 00021308
	v_cvt_pk_bf16_f32 v17, v10, v11                            // 000000005964: D2680011 0002170A
	v_cvt_pk_bf16_f32 v18, v12, v13                            // 00000000596C: D2680012 00021B0C
	v_cvt_pk_bf16_f32 v19, v14, v15                            // 000000005974: D2680013 00021F0E
	s_nop 1                                                    // 00000000597C: BF800001
	v_permlane16_swap_b32_e32 v16, v18                         // 000000005980: 7E20B312
	s_nop 1                                                    // 000000005984: BF800001
	v_permlane16_swap_b32_e32 v17, v19                         // 000000005988: 7E22B313
	s_nop 1                                                    // 00000000598C: BF800001
	buffer_store_dwordx4 v[16:19], v166, s[4:7], 0 offen       // 000000005990: E07C1000 800110A6
	v_add_u32_e32 v166, s62, v166                              // 000000005998: 694D4C3E
	v_accvgpr_read_b32 v8, a96                                 // 00000000599C: D3D84008 18000160
	v_accvgpr_read_b32 v9, a97                                 // 0000000059A4: D3D84009 18000161
	v_accvgpr_read_b32 v10, a98                                // 0000000059AC: D3D8400A 18000162
	v_accvgpr_read_b32 v11, a99                                // 0000000059B4: D3D8400B 18000163
	v_accvgpr_read_b32 v12, a104                               // 0000000059BC: D3D8400C 18000168
	v_accvgpr_read_b32 v13, a105                               // 0000000059C4: D3D8400D 18000169
	v_accvgpr_read_b32 v14, a106                               // 0000000059CC: D3D8400E 1800016A
	v_accvgpr_read_b32 v15, a107                               // 0000000059D4: D3D8400F 1800016B
	v_cvt_pk_bf16_f32 v16, v8, v9                              // 0000000059DC: D2680010 00021308
	v_cvt_pk_bf16_f32 v17, v10, v11                            // 0000000059E4: D2680011 0002170A
	v_cvt_pk_bf16_f32 v18, v12, v13                            // 0000000059EC: D2680012 00021B0C
	v_cvt_pk_bf16_f32 v19, v14, v15                            // 0000000059F4: D2680013 00021F0E
	s_nop 1                                                    // 0000000059FC: BF800001
	v_permlane16_swap_b32_e32 v16, v18                         // 000000005A00: 7E20B312
	s_nop 1                                                    // 000000005A04: BF800001
	v_permlane16_swap_b32_e32 v17, v19                         // 000000005A08: 7E22B313
	s_nop 1                                                    // 000000005A0C: BF800001
	buffer_store_dwordx4 v[16:19], v166, s[4:7], 0 offen       // 000000005A10: E07C1000 800110A6
	v_add_u32_e32 v166, s62, v166                              // 000000005A18: 694D4C3E
	v_accvgpr_read_b32 v8, a100                                // 000000005A1C: D3D84008 18000164
	v_accvgpr_read_b32 v9, a101                                // 000000005A24: D3D84009 18000165
	v_accvgpr_read_b32 v10, a102                               // 000000005A2C: D3D8400A 18000166
	v_accvgpr_read_b32 v11, a103                               // 000000005A34: D3D8400B 18000167
	v_accvgpr_read_b32 v12, a108                               // 000000005A3C: D3D8400C 1800016C
	v_accvgpr_read_b32 v13, a109                               // 000000005A44: D3D8400D 1800016D
	v_accvgpr_read_b32 v14, a110                               // 000000005A4C: D3D8400E 1800016E
	v_accvgpr_read_b32 v15, a111                               // 000000005A54: D3D8400F 1800016F
	v_cvt_pk_bf16_f32 v16, v8, v9                              // 000000005A5C: D2680010 00021308
	v_cvt_pk_bf16_f32 v17, v10, v11                            // 000000005A64: D2680011 0002170A
	v_cvt_pk_bf16_f32 v18, v12, v13                            // 000000005A6C: D2680012 00021B0C
	v_cvt_pk_bf16_f32 v19, v14, v15                            // 000000005A74: D2680013 00021F0E
	s_nop 1                                                    // 000000005A7C: BF800001
	v_permlane16_swap_b32_e32 v16, v18                         // 000000005A80: 7E20B312
	s_nop 1                                                    // 000000005A84: BF800001
	v_permlane16_swap_b32_e32 v17, v19                         // 000000005A88: 7E22B313
	s_nop 1                                                    // 000000005A8C: BF800001
	buffer_store_dwordx4 v[16:19], v166, s[4:7], 0 offen       // 000000005A90: E07C1000 800110A6
	v_add_u32_e32 v166, s62, v166                              // 000000005A98: 694D4C3E
	s_cmp_lt_i32 s60, s44                                      // 000000005A9C: BF042C3C
	s_cbranch_scc0 label_0C2C                                  // 000000005AA0: BF840083
	s_addk_i32 s60, 0x20                                       // 000000005AA4: B73C0020
	v_add_u32_e32 v166, 0xc0, v162                             // 000000005AA8: 694D44FF 000000C0
	v_accvgpr_read_b32 v8, a48                                 // 000000005AB0: D3D84008 18000130
	v_accvgpr_read_b32 v9, a49                                 // 000000005AB8: D3D84009 18000131
	v_accvgpr_read_b32 v10, a50                                // 000000005AC0: D3D8400A 18000132
	v_accvgpr_read_b32 v11, a51                                // 000000005AC8: D3D8400B 18000133
	v_accvgpr_read_b32 v12, a56                                // 000000005AD0: D3D8400C 18000138
	v_accvgpr_read_b32 v13, a57                                // 000000005AD8: D3D8400D 18000139
	v_accvgpr_read_b32 v14, a58                                // 000000005AE0: D3D8400E 1800013A
	v_accvgpr_read_b32 v15, a59                                // 000000005AE8: D3D8400F 1800013B
	v_cvt_pk_bf16_f32 v16, v8, v9                              // 000000005AF0: D2680010 00021308
	v_cvt_pk_bf16_f32 v17, v10, v11                            // 000000005AF8: D2680011 0002170A
	v_cvt_pk_bf16_f32 v18, v12, v13                            // 000000005B00: D2680012 00021B0C
	v_cvt_pk_bf16_f32 v19, v14, v15                            // 000000005B08: D2680013 00021F0E
	s_nop 1                                                    // 000000005B10: BF800001
	v_permlane16_swap_b32_e32 v16, v18                         // 000000005B14: 7E20B312
	s_nop 1                                                    // 000000005B18: BF800001
	v_permlane16_swap_b32_e32 v17, v19                         // 000000005B1C: 7E22B313
	s_nop 1                                                    // 000000005B20: BF800001
	buffer_store_dwordx4 v[16:19], v166, s[4:7], 0 offen       // 000000005B24: E07C1000 800110A6
	v_add_u32_e32 v166, s62, v166                              // 000000005B2C: 694D4C3E
	v_accvgpr_read_b32 v8, a52                                 // 000000005B30: D3D84008 18000134
	v_accvgpr_read_b32 v9, a53                                 // 000000005B38: D3D84009 18000135
	v_accvgpr_read_b32 v10, a54                                // 000000005B40: D3D8400A 18000136
	v_accvgpr_read_b32 v11, a55                                // 000000005B48: D3D8400B 18000137
	v_accvgpr_read_b32 v12, a60                                // 000000005B50: D3D8400C 1800013C
	v_accvgpr_read_b32 v13, a61                                // 000000005B58: D3D8400D 1800013D
	v_accvgpr_read_b32 v14, a62                                // 000000005B60: D3D8400E 1800013E
	v_accvgpr_read_b32 v15, a63                                // 000000005B68: D3D8400F 1800013F
	v_cvt_pk_bf16_f32 v16, v8, v9                              // 000000005B70: D2680010 00021308
	v_cvt_pk_bf16_f32 v17, v10, v11                            // 000000005B78: D2680011 0002170A
	v_cvt_pk_bf16_f32 v18, v12, v13                            // 000000005B80: D2680012 00021B0C
	v_cvt_pk_bf16_f32 v19, v14, v15                            // 000000005B88: D2680013 00021F0E
	s_nop 1                                                    // 000000005B90: BF800001
	v_permlane16_swap_b32_e32 v16, v18                         // 000000005B94: 7E20B312
	s_nop 1                                                    // 000000005B98: BF800001
	v_permlane16_swap_b32_e32 v17, v19                         // 000000005B9C: 7E22B313
	s_nop 1                                                    // 000000005BA0: BF800001
	buffer_store_dwordx4 v[16:19], v166, s[4:7], 0 offen       // 000000005BA4: E07C1000 800110A6
	v_add_u32_e32 v166, s62, v166                              // 000000005BAC: 694D4C3E
	v_accvgpr_read_b32 v8, a112                                // 000000005BB0: D3D84008 18000170
	v_accvgpr_read_b32 v9, a113                                // 000000005BB8: D3D84009 18000171
	v_accvgpr_read_b32 v10, a114                               // 000000005BC0: D3D8400A 18000172
	v_accvgpr_read_b32 v11, a115                               // 000000005BC8: D3D8400B 18000173
	v_accvgpr_read_b32 v12, a120                               // 000000005BD0: D3D8400C 18000178
	v_accvgpr_read_b32 v13, a121                               // 000000005BD8: D3D8400D 18000179
	v_accvgpr_read_b32 v14, a122                               // 000000005BE0: D3D8400E 1800017A
	v_accvgpr_read_b32 v15, a123                               // 000000005BE8: D3D8400F 1800017B
	v_cvt_pk_bf16_f32 v16, v8, v9                              // 000000005BF0: D2680010 00021308
	v_cvt_pk_bf16_f32 v17, v10, v11                            // 000000005BF8: D2680011 0002170A
	v_cvt_pk_bf16_f32 v18, v12, v13                            // 000000005C00: D2680012 00021B0C
	v_cvt_pk_bf16_f32 v19, v14, v15                            // 000000005C08: D2680013 00021F0E
	s_nop 1                                                    // 000000005C10: BF800001
	v_permlane16_swap_b32_e32 v16, v18                         // 000000005C14: 7E20B312
	s_nop 1                                                    // 000000005C18: BF800001
	v_permlane16_swap_b32_e32 v17, v19                         // 000000005C1C: 7E22B313
	s_nop 1                                                    // 000000005C20: BF800001
	buffer_store_dwordx4 v[16:19], v166, s[4:7], 0 offen       // 000000005C24: E07C1000 800110A6
	v_add_u32_e32 v166, s62, v166                              // 000000005C2C: 694D4C3E
	v_accvgpr_read_b32 v8, a116                                // 000000005C30: D3D84008 18000174
	v_accvgpr_read_b32 v9, a117                                // 000000005C38: D3D84009 18000175
	v_accvgpr_read_b32 v10, a118                               // 000000005C40: D3D8400A 18000176
	v_accvgpr_read_b32 v11, a119                               // 000000005C48: D3D8400B 18000177
	v_accvgpr_read_b32 v12, a124                               // 000000005C50: D3D8400C 1800017C
	v_accvgpr_read_b32 v13, a125                               // 000000005C58: D3D8400D 1800017D
	v_accvgpr_read_b32 v14, a126                               // 000000005C60: D3D8400E 1800017E
	v_accvgpr_read_b32 v15, a127                               // 000000005C68: D3D8400F 1800017F
	v_cvt_pk_bf16_f32 v16, v8, v9                              // 000000005C70: D2680010 00021308
	v_cvt_pk_bf16_f32 v17, v10, v11                            // 000000005C78: D2680011 0002170A
	v_cvt_pk_bf16_f32 v18, v12, v13                            // 000000005C80: D2680012 00021B0C
	v_cvt_pk_bf16_f32 v19, v14, v15                            // 000000005C88: D2680013 00021F0E
	s_nop 1                                                    // 000000005C90: BF800001
	v_permlane16_swap_b32_e32 v16, v18                         // 000000005C94: 7E20B312
	s_nop 1                                                    // 000000005C98: BF800001
	v_permlane16_swap_b32_e32 v17, v19                         // 000000005C9C: 7E22B313
	s_nop 1                                                    // 000000005CA0: BF800001
	buffer_store_dwordx4 v[16:19], v166, s[4:7], 0 offen       // 000000005CA4: E07C1000 800110A6
	v_add_u32_e32 v166, s62, v166                              // 000000005CAC: 694D4C3E

0000000000005cb0 <label_0C2C>:
	s_waitcnt vmcnt(0) expcnt(0) lgkmcnt(0)                    // 000000005CB0: BF8C0000
	s_endpgm                                                   // 000000005CB4: BF810000
